;; amdgpu-corpus repo=ROCm/rocFFT kind=compiled arch=gfx906 opt=O3
	.text
	.amdgcn_target "amdgcn-amd-amdhsa--gfx906"
	.amdhsa_code_object_version 6
	.protected	fft_rtc_back_len1911_factors_13_7_7_3_wgs_91_tpt_91_halfLds_half_op_CI_CI_unitstride_sbrr_dirReg ; -- Begin function fft_rtc_back_len1911_factors_13_7_7_3_wgs_91_tpt_91_halfLds_half_op_CI_CI_unitstride_sbrr_dirReg
	.globl	fft_rtc_back_len1911_factors_13_7_7_3_wgs_91_tpt_91_halfLds_half_op_CI_CI_unitstride_sbrr_dirReg
	.p2align	8
	.type	fft_rtc_back_len1911_factors_13_7_7_3_wgs_91_tpt_91_halfLds_half_op_CI_CI_unitstride_sbrr_dirReg,@function
fft_rtc_back_len1911_factors_13_7_7_3_wgs_91_tpt_91_halfLds_half_op_CI_CI_unitstride_sbrr_dirReg: ; @fft_rtc_back_len1911_factors_13_7_7_3_wgs_91_tpt_91_halfLds_half_op_CI_CI_unitstride_sbrr_dirReg
; %bb.0:
	s_load_dwordx4 s[8:11], s[4:5], 0x58
	s_load_dwordx4 s[12:15], s[4:5], 0x0
	;; [unrolled: 1-line block ×3, first 2 shown]
	v_mul_u32_u24_e32 v1, 0x2d1, v0
	v_mov_b32_e32 v7, 0
	v_mov_b32_e32 v5, 0
	s_waitcnt lgkmcnt(0)
	v_cmp_lt_u64_e64 s[0:1], s[14:15], 2
	v_add_u32_sdwa v9, s6, v1 dst_sel:DWORD dst_unused:UNUSED_PAD src0_sel:DWORD src1_sel:WORD_1
	v_mov_b32_e32 v10, v7
	s_and_b64 vcc, exec, s[0:1]
	v_mov_b32_e32 v6, 0
	s_cbranch_vccnz .LBB0_8
; %bb.1:
	s_load_dwordx2 s[0:1], s[4:5], 0x10
	s_add_u32 s2, s18, 8
	s_addc_u32 s3, s19, 0
	s_add_u32 s6, s16, 8
	s_addc_u32 s7, s17, 0
	v_mov_b32_e32 v5, 0
	s_waitcnt lgkmcnt(0)
	s_add_u32 s20, s0, 8
	v_mov_b32_e32 v6, 0
	v_mov_b32_e32 v1, v5
	s_addc_u32 s21, s1, 0
	s_mov_b64 s[22:23], 1
	v_mov_b32_e32 v2, v6
.LBB0_2:                                ; =>This Inner Loop Header: Depth=1
	s_load_dwordx2 s[24:25], s[20:21], 0x0
                                        ; implicit-def: $vgpr3_vgpr4
	s_waitcnt lgkmcnt(0)
	v_or_b32_e32 v8, s25, v10
	v_cmp_ne_u64_e32 vcc, 0, v[7:8]
	s_and_saveexec_b64 s[0:1], vcc
	s_xor_b64 s[26:27], exec, s[0:1]
	s_cbranch_execz .LBB0_4
; %bb.3:                                ;   in Loop: Header=BB0_2 Depth=1
	v_cvt_f32_u32_e32 v3, s24
	v_cvt_f32_u32_e32 v4, s25
	s_sub_u32 s0, 0, s24
	s_subb_u32 s1, 0, s25
	v_mac_f32_e32 v3, 0x4f800000, v4
	v_rcp_f32_e32 v3, v3
	v_mul_f32_e32 v3, 0x5f7ffffc, v3
	v_mul_f32_e32 v4, 0x2f800000, v3
	v_trunc_f32_e32 v4, v4
	v_mac_f32_e32 v3, 0xcf800000, v4
	v_cvt_u32_f32_e32 v4, v4
	v_cvt_u32_f32_e32 v3, v3
	v_mul_lo_u32 v8, s0, v4
	v_mul_hi_u32 v11, s0, v3
	v_mul_lo_u32 v13, s1, v3
	v_mul_lo_u32 v12, s0, v3
	v_add_u32_e32 v8, v11, v8
	v_add_u32_e32 v8, v8, v13
	v_mul_hi_u32 v11, v3, v12
	v_mul_lo_u32 v13, v3, v8
	v_mul_hi_u32 v15, v3, v8
	v_mul_hi_u32 v14, v4, v12
	v_mul_lo_u32 v12, v4, v12
	v_mul_hi_u32 v16, v4, v8
	v_add_co_u32_e32 v11, vcc, v11, v13
	v_addc_co_u32_e32 v13, vcc, 0, v15, vcc
	v_mul_lo_u32 v8, v4, v8
	v_add_co_u32_e32 v11, vcc, v11, v12
	v_addc_co_u32_e32 v11, vcc, v13, v14, vcc
	v_addc_co_u32_e32 v12, vcc, 0, v16, vcc
	v_add_co_u32_e32 v8, vcc, v11, v8
	v_addc_co_u32_e32 v11, vcc, 0, v12, vcc
	v_add_co_u32_e32 v3, vcc, v3, v8
	v_addc_co_u32_e32 v4, vcc, v4, v11, vcc
	v_mul_lo_u32 v8, s0, v4
	v_mul_hi_u32 v11, s0, v3
	v_mul_lo_u32 v12, s1, v3
	v_mul_lo_u32 v13, s0, v3
	v_add_u32_e32 v8, v11, v8
	v_add_u32_e32 v8, v8, v12
	v_mul_lo_u32 v14, v3, v8
	v_mul_hi_u32 v15, v3, v13
	v_mul_hi_u32 v16, v3, v8
	v_mul_hi_u32 v12, v4, v13
	v_mul_lo_u32 v13, v4, v13
	v_mul_hi_u32 v11, v4, v8
	v_add_co_u32_e32 v14, vcc, v15, v14
	v_addc_co_u32_e32 v15, vcc, 0, v16, vcc
	v_mul_lo_u32 v8, v4, v8
	v_add_co_u32_e32 v13, vcc, v14, v13
	v_addc_co_u32_e32 v12, vcc, v15, v12, vcc
	v_addc_co_u32_e32 v11, vcc, 0, v11, vcc
	v_add_co_u32_e32 v8, vcc, v12, v8
	v_addc_co_u32_e32 v11, vcc, 0, v11, vcc
	v_add_co_u32_e32 v8, vcc, v3, v8
	v_addc_co_u32_e32 v11, vcc, v4, v11, vcc
	v_mad_u64_u32 v[3:4], s[0:1], v9, v11, 0
	v_mul_hi_u32 v12, v9, v8
	v_add_co_u32_e32 v13, vcc, v12, v3
	v_addc_co_u32_e32 v14, vcc, 0, v4, vcc
	v_mad_u64_u32 v[3:4], s[0:1], v10, v8, 0
	v_mad_u64_u32 v[11:12], s[0:1], v10, v11, 0
	v_add_co_u32_e32 v3, vcc, v13, v3
	v_addc_co_u32_e32 v3, vcc, v14, v4, vcc
	v_addc_co_u32_e32 v4, vcc, 0, v12, vcc
	v_add_co_u32_e32 v8, vcc, v3, v11
	v_addc_co_u32_e32 v11, vcc, 0, v4, vcc
	v_mul_lo_u32 v12, s25, v8
	v_mul_lo_u32 v13, s24, v11
	v_mad_u64_u32 v[3:4], s[0:1], s24, v8, 0
	v_add3_u32 v4, v4, v13, v12
	v_sub_u32_e32 v12, v10, v4
	v_mov_b32_e32 v13, s25
	v_sub_co_u32_e32 v3, vcc, v9, v3
	v_subb_co_u32_e64 v12, s[0:1], v12, v13, vcc
	v_subrev_co_u32_e64 v13, s[0:1], s24, v3
	v_subbrev_co_u32_e64 v12, s[0:1], 0, v12, s[0:1]
	v_cmp_le_u32_e64 s[0:1], s25, v12
	v_cndmask_b32_e64 v14, 0, -1, s[0:1]
	v_cmp_le_u32_e64 s[0:1], s24, v13
	v_cndmask_b32_e64 v13, 0, -1, s[0:1]
	v_cmp_eq_u32_e64 s[0:1], s25, v12
	v_cndmask_b32_e64 v12, v14, v13, s[0:1]
	v_add_co_u32_e64 v13, s[0:1], 2, v8
	v_addc_co_u32_e64 v14, s[0:1], 0, v11, s[0:1]
	v_add_co_u32_e64 v15, s[0:1], 1, v8
	v_addc_co_u32_e64 v16, s[0:1], 0, v11, s[0:1]
	v_subb_co_u32_e32 v4, vcc, v10, v4, vcc
	v_cmp_ne_u32_e64 s[0:1], 0, v12
	v_cmp_le_u32_e32 vcc, s25, v4
	v_cndmask_b32_e64 v12, v16, v14, s[0:1]
	v_cndmask_b32_e64 v14, 0, -1, vcc
	v_cmp_le_u32_e32 vcc, s24, v3
	v_cndmask_b32_e64 v3, 0, -1, vcc
	v_cmp_eq_u32_e32 vcc, s25, v4
	v_cndmask_b32_e32 v3, v14, v3, vcc
	v_cmp_ne_u32_e32 vcc, 0, v3
	v_cndmask_b32_e64 v3, v15, v13, s[0:1]
	v_cndmask_b32_e32 v4, v11, v12, vcc
	v_cndmask_b32_e32 v3, v8, v3, vcc
.LBB0_4:                                ;   in Loop: Header=BB0_2 Depth=1
	s_andn2_saveexec_b64 s[0:1], s[26:27]
	s_cbranch_execz .LBB0_6
; %bb.5:                                ;   in Loop: Header=BB0_2 Depth=1
	v_cvt_f32_u32_e32 v3, s24
	s_sub_i32 s26, 0, s24
	v_rcp_iflag_f32_e32 v3, v3
	v_mul_f32_e32 v3, 0x4f7ffffe, v3
	v_cvt_u32_f32_e32 v3, v3
	v_mul_lo_u32 v4, s26, v3
	v_mul_hi_u32 v4, v3, v4
	v_add_u32_e32 v3, v3, v4
	v_mul_hi_u32 v3, v9, v3
	v_mul_lo_u32 v4, v3, s24
	v_add_u32_e32 v8, 1, v3
	v_sub_u32_e32 v4, v9, v4
	v_subrev_u32_e32 v11, s24, v4
	v_cmp_le_u32_e32 vcc, s24, v4
	v_cndmask_b32_e32 v4, v4, v11, vcc
	v_cndmask_b32_e32 v3, v3, v8, vcc
	v_add_u32_e32 v8, 1, v3
	v_cmp_le_u32_e32 vcc, s24, v4
	v_cndmask_b32_e32 v3, v3, v8, vcc
	v_mov_b32_e32 v4, v7
.LBB0_6:                                ;   in Loop: Header=BB0_2 Depth=1
	s_or_b64 exec, exec, s[0:1]
	v_mul_lo_u32 v8, v4, s24
	v_mul_lo_u32 v13, v3, s25
	v_mad_u64_u32 v[11:12], s[0:1], v3, s24, 0
	s_load_dwordx2 s[0:1], s[6:7], 0x0
	s_load_dwordx2 s[24:25], s[2:3], 0x0
	v_add3_u32 v8, v12, v13, v8
	v_sub_co_u32_e32 v9, vcc, v9, v11
	v_subb_co_u32_e32 v8, vcc, v10, v8, vcc
	s_waitcnt lgkmcnt(0)
	v_mul_lo_u32 v10, s0, v8
	v_mul_lo_u32 v11, s1, v9
	v_mad_u64_u32 v[5:6], s[0:1], s0, v9, v[5:6]
	v_mul_lo_u32 v8, s24, v8
	v_mul_lo_u32 v12, s25, v9
	v_mad_u64_u32 v[1:2], s[0:1], s24, v9, v[1:2]
	s_add_u32 s22, s22, 1
	s_addc_u32 s23, s23, 0
	s_add_u32 s2, s2, 8
	v_add3_u32 v2, v12, v2, v8
	s_addc_u32 s3, s3, 0
	v_mov_b32_e32 v8, s14
	s_add_u32 s6, s6, 8
	v_mov_b32_e32 v9, s15
	s_addc_u32 s7, s7, 0
	v_cmp_ge_u64_e32 vcc, s[22:23], v[8:9]
	s_add_u32 s20, s20, 8
	v_add3_u32 v6, v11, v6, v10
	s_addc_u32 s21, s21, 0
	s_cbranch_vccnz .LBB0_9
; %bb.7:                                ;   in Loop: Header=BB0_2 Depth=1
	v_mov_b32_e32 v10, v4
	v_mov_b32_e32 v9, v3
	s_branch .LBB0_2
.LBB0_8:
	v_mov_b32_e32 v1, v5
	v_mov_b32_e32 v3, v9
	;; [unrolled: 1-line block ×4, first 2 shown]
.LBB0_9:
	s_load_dwordx2 s[4:5], s[4:5], 0x28
	s_lshl_b64 s[6:7], s[14:15], 3
	s_add_u32 s2, s18, s6
	s_addc_u32 s3, s19, s7
                                        ; implicit-def: $sgpr14
                                        ; implicit-def: $vgpr9
	s_waitcnt lgkmcnt(0)
	v_cmp_gt_u64_e64 s[0:1], s[4:5], v[3:4]
	v_cmp_le_u64_e32 vcc, s[4:5], v[3:4]
	s_and_saveexec_b64 s[4:5], vcc
	s_xor_b64 s[4:5], exec, s[4:5]
; %bb.10:
	s_mov_b32 s14, 0x2d02d03
	v_mul_hi_u32 v5, v0, s14
	s_mov_b32 s14, 0
	v_mul_u32_u24_e32 v5, 0x5b, v5
	v_sub_u32_e32 v9, v0, v5
                                        ; implicit-def: $vgpr0
                                        ; implicit-def: $vgpr5_vgpr6
; %bb.11:
	s_or_saveexec_b64 s[4:5], s[4:5]
	s_load_dwordx2 s[2:3], s[2:3], 0x0
	v_mov_b32_e32 v10, s14
	v_mov_b32_e32 v47, s14
                                        ; implicit-def: $vgpr7
                                        ; implicit-def: $vgpr48
                                        ; implicit-def: $vgpr8
                                        ; implicit-def: $vgpr35
                                        ; implicit-def: $vgpr49
                                        ; implicit-def: $vgpr36
                                        ; implicit-def: $vgpr50
                                        ; implicit-def: $vgpr37
                                        ; implicit-def: $vgpr51
                                        ; implicit-def: $vgpr38
                                        ; implicit-def: $vgpr52
                                        ; implicit-def: $vgpr39
                                        ; implicit-def: $vgpr53
                                        ; implicit-def: $vgpr40
                                        ; implicit-def: $vgpr54
                                        ; implicit-def: $vgpr41
                                        ; implicit-def: $vgpr55
                                        ; implicit-def: $vgpr42
                                        ; implicit-def: $vgpr56
                                        ; implicit-def: $vgpr43
                                        ; implicit-def: $vgpr57
                                        ; implicit-def: $vgpr44
                                        ; implicit-def: $vgpr30
                                        ; implicit-def: $vgpr11
                                        ; implicit-def: $vgpr28
                                        ; implicit-def: $vgpr12
                                        ; implicit-def: $vgpr27
                                        ; implicit-def: $vgpr13
                                        ; implicit-def: $vgpr26
                                        ; implicit-def: $vgpr14
                                        ; implicit-def: $vgpr24
                                        ; implicit-def: $vgpr15
                                        ; implicit-def: $vgpr22
                                        ; implicit-def: $vgpr16
                                        ; implicit-def: $vgpr34
                                        ; implicit-def: $vgpr23
                                        ; implicit-def: $vgpr33
                                        ; implicit-def: $vgpr21
                                        ; implicit-def: $vgpr32
                                        ; implicit-def: $vgpr20
                                        ; implicit-def: $vgpr31
                                        ; implicit-def: $vgpr19
                                        ; implicit-def: $vgpr29
                                        ; implicit-def: $vgpr18
                                        ; implicit-def: $vgpr25
                                        ; implicit-def: $vgpr17
                                        ; implicit-def: $vgpr60
                                        ; implicit-def: $vgpr46
                                        ; implicit-def: $vgpr59
                                        ; implicit-def: $vgpr45
	s_xor_b64 exec, exec, s[4:5]
	s_cbranch_execz .LBB0_15
; %bb.12:
	s_add_u32 s6, s16, s6
	s_addc_u32 s7, s17, s7
	s_load_dwordx2 s[6:7], s[6:7], 0x0
	s_mov_b32 s14, 0x2d02d03
	v_mul_hi_u32 v9, v0, s14
	v_lshlrev_b64 v[5:6], 2, v[5:6]
	v_mov_b32_e32 v47, 0
	s_waitcnt lgkmcnt(0)
	v_mul_lo_u32 v10, s7, v3
	v_mul_lo_u32 v11, s6, v4
	v_mad_u64_u32 v[7:8], s[6:7], s6, v3, 0
	v_mul_u32_u24_e32 v9, 0x5b, v9
	v_sub_u32_e32 v9, v0, v9
	v_add3_u32 v8, v8, v11, v10
	v_lshlrev_b64 v[7:8], 2, v[7:8]
	v_mov_b32_e32 v0, s9
	v_add_co_u32_e32 v7, vcc, s8, v7
	v_addc_co_u32_e32 v0, vcc, v0, v8, vcc
	v_add_co_u32_e32 v5, vcc, v7, v5
	v_addc_co_u32_e32 v0, vcc, v0, v6, vcc
	v_lshlrev_b32_e32 v6, 2, v9
	v_add_co_u32_e32 v5, vcc, v5, v6
	v_addc_co_u32_e32 v6, vcc, 0, v0, vcc
	s_movk_i32 s6, 0x1000
	v_add_co_u32_e32 v7, vcc, s6, v5
	v_addc_co_u32_e32 v8, vcc, 0, v6, vcc
	global_load_dword v48, v[5:6], off
	global_load_dword v35, v[5:6], off offset:588
	global_load_dword v36, v[5:6], off offset:1176
	;; [unrolled: 1-line block ×12, first 2 shown]
	v_cmp_gt_u32_e32 vcc, 56, v9
	v_mov_b32_e32 v10, 0
                                        ; implicit-def: $vgpr17
                                        ; implicit-def: $vgpr25
                                        ; implicit-def: $vgpr18
                                        ; implicit-def: $vgpr29
                                        ; implicit-def: $vgpr19
                                        ; implicit-def: $vgpr31
                                        ; implicit-def: $vgpr20
                                        ; implicit-def: $vgpr32
                                        ; implicit-def: $vgpr21
                                        ; implicit-def: $vgpr33
                                        ; implicit-def: $vgpr23
                                        ; implicit-def: $vgpr34
                                        ; implicit-def: $vgpr16
                                        ; implicit-def: $vgpr22
                                        ; implicit-def: $vgpr15
                                        ; implicit-def: $vgpr24
                                        ; implicit-def: $vgpr14
                                        ; implicit-def: $vgpr26
                                        ; implicit-def: $vgpr13
                                        ; implicit-def: $vgpr27
                                        ; implicit-def: $vgpr12
                                        ; implicit-def: $vgpr28
                                        ; implicit-def: $vgpr11
                                        ; implicit-def: $vgpr30
	s_and_saveexec_b64 s[6:7], vcc
	s_cbranch_execz .LBB0_14
; %bb.13:
	global_load_dword v47, v[5:6], off offset:364
	global_load_dword v11, v[5:6], off offset:952
	;; [unrolled: 1-line block ×13, first 2 shown]
	s_waitcnt vmcnt(12)
	v_lshrrev_b32_e32 v10, 16, v47
	s_waitcnt vmcnt(11)
	v_lshrrev_b32_e32 v30, 16, v11
	;; [unrolled: 2-line block ×13, first 2 shown]
.LBB0_14:
	s_or_b64 exec, exec, s[6:7]
	s_waitcnt vmcnt(12)
	v_lshrrev_b32_e32 v7, 16, v48
	s_waitcnt vmcnt(11)
	v_lshrrev_b32_e32 v8, 16, v35
	;; [unrolled: 2-line block ×13, first 2 shown]
.LBB0_15:
	s_or_b64 exec, exec, s[4:5]
	v_add_f16_e32 v0, v48, v35
	v_add_f16_e32 v0, v0, v36
	;; [unrolled: 1-line block ×12, first 2 shown]
	v_sub_f16_e32 v5, v8, v60
	v_mad_u32_u24 v58, v9, 26, 0
	s_mov_b32 s28, 0xba95b770
	v_add_f16_e32 v6, v46, v35
	v_sub_f16_e32 v63, v49, v57
	ds_write_b16 v58, v0
	s_mov_b32 s6, 0x388b3b15
	v_pk_mul_f16 v0, v5, s28 op_sel_hi:[0,1]
	s_mov_b32 s31, 0xbb7bba95
	v_add_f16_e32 v65, v36, v44
	v_sub_f16_e32 v64, v50, v59
	v_pk_fma_f16 v61, v6, s6, v0 op_sel_hi:[0,1,1]
	s_mov_b32 s9, 0xb5ac388b
	v_pk_mul_f16 v73, v63, s31 op_sel_hi:[0,1]
	s_mov_b32 s35, 0xb3a8bbf1
	v_add_f16_e32 v66, v45, v37
	v_sub_f16_e32 v68, v51, v56
	v_pk_add_f16 v61, v61, v48 op_sel_hi:[1,0]
	v_pk_fma_f16 v62, v65, s9, v73 op_sel_hi:[0,1,1]
	s_mov_b32 s16, 0xbbc42fb7
	v_pk_mul_f16 v74, v64, s35 op_sel_hi:[0,1]
	s_mov_b32 s38, 0x394ebb7b
	v_add_f16_e32 v67, v38, v43
	v_sub_f16_e32 v70, v52, v55
	v_pk_add_f16 v61, v62, v61
	v_pk_fma_f16 v62, v66, s16, v74 op_sel_hi:[0,1,1]
	s_mov_b32 s19, 0xb9fdb5ac
	v_pk_mul_f16 v75, v68, s38 op_sel_hi:[0,1]
	s_mov_b32 s41, 0x3bf1b94e
	v_add_f16_e32 v69, v39, v42
	v_sub_f16_e32 v72, v53, v54
	v_pk_add_f16 v61, v61, v62
	v_pk_fma_f16 v62, v67, s19, v75 op_sel_hi:[0,1,1]
	s_mov_b32 s22, 0x2fb7b9fd
	v_pk_mul_f16 v76, v70, s41 op_sel_hi:[0,1]
	s_mov_b32 s44, 0x3770b3a8
	v_add_f16_e32 v71, v40, v41
	v_pk_add_f16 v61, v62, v61
	v_pk_fma_f16 v62, v69, s22, v76 op_sel_hi:[0,1,1]
	s_mov_b32 s25, 0x3b15bbc4
	v_pk_mul_f16 v77, v72, s44 op_sel_hi:[0,1]
	s_mov_b32 s29, 0xbb7bbbf1
	v_pk_add_f16 v61, v62, v61
	v_pk_fma_f16 v62, v71, s25, v77 op_sel_hi:[0,1,1]
	s_mov_b32 s7, 0xb5ac2fb7
	v_pk_mul_f16 v78, v5, s29 op_sel_hi:[0,1]
	s_mov_b32 s33, 0x394eb3a8
	v_pk_add_f16 v61, v62, v61
	v_pk_fma_f16 v62, v6, s7, v78 op_sel_hi:[0,1,1]
	s_mov_b32 s14, 0xb9fdbbc4
	v_pk_mul_f16 v79, v63, s33 op_sel_hi:[0,1]
	v_pk_add_f16 v62, v62, v48 op_sel_hi:[1,0]
	v_pk_fma_f16 v80, v65, s14, v79 op_sel_hi:[0,1,1]
	s_mov_b32 s36, 0x37703b7b
	v_pk_add_f16 v62, v80, v62
	s_mov_b32 s17, 0x3b15b5ac
	v_pk_mul_f16 v80, v64, s36 op_sel_hi:[0,1]
	v_pk_fma_f16 v81, v66, s17, v80 op_sel_hi:[0,1,1]
	s_mov_b32 s39, 0xbbf13770
	v_pk_add_f16 v62, v62, v81
	s_mov_b32 s20, 0x2fb73b15
	v_pk_mul_f16 v81, v68, s39 op_sel_hi:[0,1]
	;; [unrolled: 5-line block ×4, first 2 shown]
	s_mov_b32 s30, 0xb3a8b94e
	v_pk_fma_f16 v84, v71, s26, v83 op_sel_hi:[0,1,1]
	s_mov_b32 s8, 0xbbc4b9fd
	v_pk_mul_f16 v5, v5, s30 op_sel_hi:[0,1]
	s_mov_b32 s34, 0x37703bf1
	v_pk_add_f16 v62, v84, v62
	v_pk_fma_f16 v84, v6, s8, v5 op_sel_hi:[0,1,1]
	s_mov_b32 s15, 0x3b152fb7
	v_pk_mul_f16 v85, v63, s34 op_sel_hi:[0,1]
	s_mov_b32 s37, 0xb94eba95
	v_pk_add_f16 v84, v84, v48 op_sel_hi:[1,0]
	v_pk_fma_f16 v63, v65, s15, v85 op_sel_hi:[0,1,1]
	s_mov_b32 s18, 0xb9fd388b
	v_pk_mul_f16 v64, v64, s37 op_sel_hi:[0,1]
	s_mov_b32 s40, 0x3a9533a8
	v_pk_add_f16 v63, v63, v84
	v_pk_fma_f16 v84, v66, s18, v64 op_sel_hi:[0,1,1]
	s_mov_b32 s21, 0x388bbbc4
	v_pk_mul_f16 v68, v68, s40 op_sel_hi:[0,1]
	s_mov_b32 s43, 0xbb7b3770
	v_pk_add_f16 v63, v63, v84
	;; [unrolled: 5-line block ×3, first 2 shown]
	v_pk_fma_f16 v84, v69, s24, v70 op_sel_hi:[0,1,1]
	s_mov_b32 s27, 0x2fb7b5ac
	v_pk_mul_f16 v72, v72, s46 op_sel_hi:[0,1]
	v_pk_add_f16 v63, v84, v63
	v_pk_fma_f16 v84, v71, s27, v72 op_sel_hi:[0,1,1]
	v_pk_fma_f16 v5, v6, s8, v5 op_sel_hi:[0,1,1] neg_lo:[0,0,1] neg_hi:[0,0,1]
	v_pk_add_f16 v63, v84, v63
	v_pk_add_f16 v5, v5, v48 op_sel_hi:[1,0]
	v_pk_fma_f16 v84, v65, s15, v85 op_sel_hi:[0,1,1] neg_lo:[0,0,1] neg_hi:[0,0,1]
	v_pk_add_f16 v5, v84, v5
	v_pk_fma_f16 v64, v66, s18, v64 op_sel_hi:[0,1,1] neg_lo:[0,0,1] neg_hi:[0,0,1]
	v_pk_add_f16 v5, v5, v64
	;; [unrolled: 2-line block ×5, first 2 shown]
	v_alignbit_b32 v64, v5, v5, 16
	v_pk_fma_f16 v5, v6, s7, v78 op_sel_hi:[0,1,1] neg_lo:[0,0,1] neg_hi:[0,0,1]
	v_pk_fma_f16 v0, v6, s6, v0 op_sel_hi:[0,1,1] neg_lo:[0,0,1] neg_hi:[0,0,1]
	ds_write_b128 v58, v[61:64] offset:2
	v_pk_add_f16 v5, v5, v48 op_sel_hi:[1,0]
	v_pk_fma_f16 v61, v65, s14, v79 op_sel_hi:[0,1,1] neg_lo:[0,0,1] neg_hi:[0,0,1]
	v_pk_add_f16 v0, v0, v48 op_sel_hi:[1,0]
	v_pk_fma_f16 v6, v65, s9, v73 op_sel_hi:[0,1,1] neg_lo:[0,0,1] neg_hi:[0,0,1]
	v_pk_add_f16 v5, v61, v5
	v_pk_fma_f16 v61, v66, s17, v80 op_sel_hi:[0,1,1] neg_lo:[0,0,1] neg_hi:[0,0,1]
	v_pk_add_f16 v0, v6, v0
	;; [unrolled: 2-line block ×9, first 2 shown]
	v_pk_add_f16 v0, v6, v0
	v_alignbit_b32 v5, v5, v5, 16
	v_alignbit_b32 v6, v0, v0, 16
	v_cmp_gt_u32_e32 vcc, 56, v9
	ds_write_b64 v58, v[5:6] offset:18
	s_and_saveexec_b64 s[4:5], vcc
	s_cbranch_execz .LBB0_17
; %bb.16:
	v_add_f16_e32 v0, v47, v11
	v_add_f16_e32 v0, v0, v12
	;; [unrolled: 1-line block ×12, first 2 shown]
	v_sub_f16_e32 v5, v30, v34
	v_add_f16_e32 v6, v11, v23
	v_sub_f16_e32 v63, v28, v33
	ds_write_b16 v58, v0 offset:2366
	v_pk_mul_f16 v0, v5, s28 op_sel_hi:[0,1]
	v_add_f16_e32 v48, v12, v21
	v_sub_f16_e32 v64, v27, v32
	v_pk_mul_f16 v72, v63, s31 op_sel_hi:[0,1]
	v_pk_fma_f16 v61, v6, s6, v0 op_sel_hi:[0,1,1]
	v_add_f16_e32 v65, v13, v20
	v_sub_f16_e32 v67, v26, v31
	v_pk_mul_f16 v73, v64, s35 op_sel_hi:[0,1]
	v_pk_add_f16 v61, v47, v61 op_sel_hi:[0,1]
	v_pk_fma_f16 v62, v48, s9, v72 op_sel_hi:[0,1,1]
	v_add_f16_e32 v66, v14, v19
	v_sub_f16_e32 v69, v24, v29
	v_pk_mul_f16 v74, v67, s38 op_sel_hi:[0,1]
	v_pk_add_f16 v61, v61, v62
	v_pk_fma_f16 v62, v65, s16, v73 op_sel_hi:[0,1,1]
	v_add_f16_e32 v68, v15, v18
	v_sub_f16_e32 v71, v22, v25
	v_pk_mul_f16 v75, v69, s41 op_sel_hi:[0,1]
	v_pk_add_f16 v61, v61, v62
	v_pk_fma_f16 v62, v66, s19, v74 op_sel_hi:[0,1,1]
	v_add_f16_e32 v70, v16, v17
	v_pk_mul_f16 v76, v71, s44 op_sel_hi:[0,1]
	v_pk_add_f16 v61, v61, v62
	v_pk_fma_f16 v62, v68, s22, v75 op_sel_hi:[0,1,1]
	v_pk_add_f16 v61, v61, v62
	v_pk_fma_f16 v62, v70, s25, v76 op_sel_hi:[0,1,1]
	v_pk_mul_f16 v77, v5, s29 op_sel_hi:[0,1]
	v_pk_add_f16 v61, v61, v62
	v_pk_mul_f16 v78, v63, s33 op_sel_hi:[0,1]
	v_pk_fma_f16 v62, v6, s7, v77 op_sel_hi:[0,1,1]
	v_pk_mul_f16 v79, v64, s36 op_sel_hi:[0,1]
	v_pk_add_f16 v62, v47, v62 op_sel_hi:[0,1]
	v_pk_fma_f16 v83, v48, s14, v78 op_sel_hi:[0,1,1]
	v_pk_mul_f16 v80, v67, s39 op_sel_hi:[0,1]
	v_pk_add_f16 v62, v62, v83
	v_pk_fma_f16 v83, v65, s17, v79 op_sel_hi:[0,1,1]
	v_pk_mul_f16 v81, v69, s42 op_sel_hi:[0,1]
	v_pk_add_f16 v62, v62, v83
	;; [unrolled: 3-line block ×3, first 2 shown]
	v_pk_fma_f16 v83, v68, s23, v81 op_sel_hi:[0,1,1]
	v_pk_add_f16 v62, v62, v83
	v_pk_fma_f16 v83, v70, s26, v82 op_sel_hi:[0,1,1]
	v_pk_mul_f16 v5, v5, s30 op_sel_hi:[0,1]
	v_pk_add_f16 v62, v62, v83
	v_pk_mul_f16 v83, v63, s34 op_sel_hi:[0,1]
	v_pk_fma_f16 v63, v6, s8, v5 op_sel_hi:[0,1,1]
	v_pk_fma_f16 v5, v6, s8, v5 op_sel_hi:[0,1,1] neg_lo:[0,0,1] neg_hi:[0,0,1]
	v_pk_mul_f16 v64, v64, s37 op_sel_hi:[0,1]
	v_pk_add_f16 v63, v47, v63 op_sel_hi:[0,1]
	v_pk_fma_f16 v84, v48, s15, v83 op_sel_hi:[0,1,1]
	v_pk_add_f16 v5, v47, v5 op_sel_hi:[0,1]
	v_pk_fma_f16 v83, v48, s15, v83 op_sel_hi:[0,1,1] neg_lo:[0,0,1] neg_hi:[0,0,1]
	v_pk_mul_f16 v67, v67, s40 op_sel_hi:[0,1]
	v_pk_add_f16 v63, v63, v84
	v_pk_fma_f16 v84, v65, s18, v64 op_sel_hi:[0,1,1]
	v_pk_add_f16 v5, v5, v83
	v_pk_fma_f16 v64, v65, s18, v64 op_sel_hi:[0,1,1] neg_lo:[0,0,1] neg_hi:[0,0,1]
	v_pk_mul_f16 v69, v69, s43 op_sel_hi:[0,1]
	v_pk_add_f16 v5, v5, v64
	v_pk_fma_f16 v64, v66, s21, v67 op_sel_hi:[0,1,1] neg_lo:[0,0,1] neg_hi:[0,0,1]
	v_pk_mul_f16 v71, v71, s46 op_sel_hi:[0,1]
	v_pk_add_f16 v63, v63, v84
	v_pk_fma_f16 v84, v66, s21, v67 op_sel_hi:[0,1,1]
	v_pk_add_f16 v5, v5, v64
	v_pk_fma_f16 v64, v68, s24, v69 op_sel_hi:[0,1,1] neg_lo:[0,0,1] neg_hi:[0,0,1]
	v_pk_add_f16 v63, v63, v84
	v_pk_fma_f16 v84, v68, s24, v69 op_sel_hi:[0,1,1]
	v_pk_add_f16 v5, v5, v64
	v_pk_fma_f16 v64, v70, s27, v71 op_sel_hi:[0,1,1] neg_lo:[0,0,1] neg_hi:[0,0,1]
	v_pk_add_f16 v63, v63, v84
	v_pk_fma_f16 v84, v70, s27, v71 op_sel_hi:[0,1,1]
	v_pk_add_f16 v5, v5, v64
	v_pk_add_f16 v63, v63, v84
	v_alignbit_b32 v64, v5, v5, 16
	v_pk_fma_f16 v5, v6, s7, v77 op_sel_hi:[0,1,1] neg_lo:[0,0,1] neg_hi:[0,0,1]
	v_pk_fma_f16 v0, v6, s6, v0 op_sel_hi:[0,1,1] neg_lo:[0,0,1] neg_hi:[0,0,1]
	ds_write_b128 v58, v[61:64] offset:2368
	v_pk_add_f16 v5, v47, v5 op_sel_hi:[0,1]
	v_pk_fma_f16 v61, v48, s14, v78 op_sel_hi:[0,1,1] neg_lo:[0,0,1] neg_hi:[0,0,1]
	v_pk_add_f16 v0, v47, v0 op_sel_hi:[0,1]
	v_pk_fma_f16 v6, v48, s9, v72 op_sel_hi:[0,1,1] neg_lo:[0,0,1] neg_hi:[0,0,1]
	v_pk_add_f16 v5, v5, v61
	v_pk_fma_f16 v61, v65, s17, v79 op_sel_hi:[0,1,1] neg_lo:[0,0,1] neg_hi:[0,0,1]
	v_pk_add_f16 v0, v0, v6
	;; [unrolled: 2-line block ×9, first 2 shown]
	v_pk_add_f16 v0, v0, v6
	v_alignbit_b32 v5, v5, v5, 16
	v_alignbit_b32 v6, v0, v0, 16
	ds_write_b64 v58, v[5:6] offset:2384
.LBB0_17:
	s_or_b64 exec, exec, s[4:5]
	v_add_f16_e32 v0, v7, v8
	v_add_f16_e32 v0, v0, v49
	;; [unrolled: 1-line block ×11, first 2 shown]
	v_sub_f16_e32 v5, v35, v46
	v_add_f16_e32 v61, v60, v0
	v_add_f16_e32 v0, v60, v8
	v_sub_f16_e32 v8, v36, v44
	v_sub_f16_e32 v40, v40, v41
	v_pk_mul_f16 v41, v5, s28 op_sel_hi:[0,1]
	v_add_f16_e32 v6, v49, v57
	v_sub_f16_e32 v36, v37, v45
	v_pk_fma_f16 v44, v0, s6, v41 op_sel_hi:[0,1,1] neg_lo:[0,0,1] neg_hi:[0,0,1]
	v_pk_mul_f16 v45, v8, s31 op_sel_hi:[0,1]
	v_pk_add_f16 v44, v44, v7 op_sel_hi:[1,0]
	v_pk_fma_f16 v46, v6, s9, v45 op_sel_hi:[0,1,1] neg_lo:[0,0,1] neg_hi:[0,0,1]
	v_add_f16_e32 v35, v59, v50
	v_pk_add_f16 v44, v46, v44
	v_pk_mul_f16 v46, v36, s35 op_sel_hi:[0,1]
	v_sub_f16_e32 v38, v38, v43
	v_pk_fma_f16 v47, v35, s16, v46 op_sel_hi:[0,1,1] neg_lo:[0,0,1] neg_hi:[0,0,1]
	v_add_f16_e32 v37, v51, v56
	v_pk_add_f16 v44, v44, v47
	v_pk_mul_f16 v47, v38, s38 op_sel_hi:[0,1]
	v_sub_f16_e32 v39, v39, v42
	v_pk_fma_f16 v48, v37, s19, v47 op_sel_hi:[0,1,1] neg_lo:[0,0,1] neg_hi:[0,0,1]
	v_add_f16_e32 v43, v52, v55
	v_pk_add_f16 v44, v48, v44
	v_pk_mul_f16 v48, v39, s41 op_sel_hi:[0,1]
	v_pk_fma_f16 v49, v43, s22, v48 op_sel_hi:[0,1,1] neg_lo:[0,0,1] neg_hi:[0,0,1]
	v_add_f16_e32 v42, v53, v54
	v_pk_add_f16 v44, v49, v44
	v_pk_mul_f16 v49, v40, s44 op_sel_hi:[0,1]
	v_pk_fma_f16 v50, v42, s25, v49 op_sel_hi:[0,1,1] neg_lo:[0,0,1] neg_hi:[0,0,1]
	v_pk_fma_f16 v41, v0, s6, v41 op_sel_hi:[0,1,1]
	v_pk_add_f16 v54, v50, v44
	v_pk_add_f16 v41, v41, v7 op_sel_hi:[1,0]
	v_pk_fma_f16 v44, v6, s9, v45 op_sel_hi:[0,1,1]
	v_pk_add_f16 v41, v44, v41
	v_pk_fma_f16 v44, v35, s16, v46 op_sel_hi:[0,1,1]
	v_pk_add_f16 v41, v41, v44
	;; [unrolled: 2-line block ×5, first 2 shown]
	v_pk_mul_f16 v41, v5, s29 op_sel_hi:[0,1]
	v_pk_fma_f16 v44, v0, s7, v41 op_sel_hi:[0,1,1] neg_lo:[0,0,1] neg_hi:[0,0,1]
	v_pk_mul_f16 v45, v8, s33 op_sel_hi:[0,1]
	v_pk_add_f16 v44, v44, v7 op_sel_hi:[1,0]
	v_pk_fma_f16 v46, v6, s14, v45 op_sel_hi:[0,1,1] neg_lo:[0,0,1] neg_hi:[0,0,1]
	v_pk_add_f16 v44, v46, v44
	v_pk_mul_f16 v46, v36, s36 op_sel_hi:[0,1]
	v_pk_fma_f16 v47, v35, s17, v46 op_sel_hi:[0,1,1] neg_lo:[0,0,1] neg_hi:[0,0,1]
	v_pk_add_f16 v44, v44, v47
	v_pk_mul_f16 v47, v38, s39 op_sel_hi:[0,1]
	v_pk_fma_f16 v48, v37, s20, v47 op_sel_hi:[0,1,1] neg_lo:[0,0,1] neg_hi:[0,0,1]
	v_pk_add_f16 v44, v48, v44
	v_pk_mul_f16 v48, v39, s42 op_sel_hi:[0,1]
	v_pk_fma_f16 v49, v43, s23, v48 op_sel_hi:[0,1,1] neg_lo:[0,0,1] neg_hi:[0,0,1]
	v_pk_add_f16 v44, v49, v44
	v_pk_mul_f16 v49, v40, s45 op_sel_hi:[0,1]
	v_pk_fma_f16 v50, v42, s26, v49 op_sel_hi:[0,1,1] neg_lo:[0,0,1] neg_hi:[0,0,1]
	v_pk_fma_f16 v41, v0, s7, v41 op_sel_hi:[0,1,1]
	v_pk_add_f16 v55, v50, v44
	v_pk_add_f16 v41, v41, v7 op_sel_hi:[1,0]
	v_pk_fma_f16 v44, v6, s14, v45 op_sel_hi:[0,1,1]
	v_pk_add_f16 v41, v44, v41
	v_pk_fma_f16 v44, v35, s17, v46 op_sel_hi:[0,1,1]
	v_pk_add_f16 v41, v41, v44
	v_pk_fma_f16 v44, v37, s20, v47 op_sel_hi:[0,1,1]
	v_pk_add_f16 v41, v44, v41
	v_pk_fma_f16 v44, v43, s23, v48 op_sel_hi:[0,1,1]
	v_pk_add_f16 v41, v44, v41
	v_pk_fma_f16 v44, v42, s26, v49 op_sel_hi:[0,1,1]
	v_pk_mul_f16 v5, v5, s30 op_sel_hi:[0,1]
	v_pk_add_f16 v60, v44, v41
	v_pk_fma_f16 v41, v0, s8, v5 op_sel_hi:[0,1,1] neg_lo:[0,0,1] neg_hi:[0,0,1]
	v_pk_mul_f16 v8, v8, s34 op_sel_hi:[0,1]
	v_pk_fma_f16 v0, v0, s8, v5 op_sel_hi:[0,1,1]
	v_pk_mul_f16 v36, v36, s37 op_sel_hi:[0,1]
	v_pk_add_f16 v0, v0, v7 op_sel_hi:[1,0]
	v_pk_fma_f16 v5, v6, s15, v8 op_sel_hi:[0,1,1]
	v_pk_add_f16 v41, v41, v7 op_sel_hi:[1,0]
	v_pk_fma_f16 v44, v6, s15, v8 op_sel_hi:[0,1,1] neg_lo:[0,0,1] neg_hi:[0,0,1]
	v_pk_mul_f16 v38, v38, s40 op_sel_hi:[0,1]
	v_pk_add_f16 v0, v5, v0
	v_pk_fma_f16 v5, v35, s18, v36 op_sel_hi:[0,1,1]
	v_pk_add_f16 v41, v44, v41
	v_pk_fma_f16 v44, v35, s18, v36 op_sel_hi:[0,1,1] neg_lo:[0,0,1] neg_hi:[0,0,1]
	v_pk_mul_f16 v39, v39, s43 op_sel_hi:[0,1]
	v_pk_add_f16 v0, v0, v5
	v_pk_fma_f16 v5, v37, s21, v38 op_sel_hi:[0,1,1]
	v_pk_add_f16 v41, v41, v44
	;; [unrolled: 5-line block ×3, first 2 shown]
	v_pk_fma_f16 v44, v43, s24, v39 op_sel_hi:[0,1,1] neg_lo:[0,0,1] neg_hi:[0,0,1]
	v_pk_add_f16 v0, v5, v0
	v_pk_fma_f16 v5, v42, s27, v40 op_sel_hi:[0,1,1]
	s_movk_i32 s4, 0xffe8
	v_pk_add_f16 v41, v44, v41
	v_pk_fma_f16 v44, v42, s27, v40 op_sel_hi:[0,1,1] neg_lo:[0,0,1] neg_hi:[0,0,1]
	v_pk_add_f16 v8, v5, v0
	v_mad_i32_i24 v0, v9, s4, v58
	v_pk_add_f16 v56, v44, v41
	s_waitcnt lgkmcnt(0)
	s_barrier
	ds_read_u16 v35, v0
	ds_read_u16 v6, v0 offset:182
	ds_read_u16 v46, v0 offset:728
	ds_read_u16 v45, v0 offset:1274
	ds_read_u16 v44, v0 offset:1820
	ds_read_u16 v43, v0 offset:2366
	ds_read_u16 v41, v0 offset:2912
	ds_read_u16 v48, v0 offset:1092
	ds_read_u16 v39, v0 offset:910
	ds_read_u16 v50, v0 offset:546
	ds_read_u16 v5, v0 offset:364
	ds_read_u16 v49, v0 offset:2730
	ds_read_u16 v37, v0 offset:2548
	ds_read_u16 v51, v0 offset:2184
	ds_read_u16 v40, v0 offset:2002
	ds_read_u16 v53, v0 offset:1638
	ds_read_u16 v42, v0 offset:1456
	ds_read_u16 v47, v0 offset:3458
	ds_read_u16 v36, v0 offset:3640
	ds_read_u16 v52, v0 offset:3276
	ds_read_u16 v38, v0 offset:3094
	v_alignbit_b32 v57, v8, v8, 16
	v_add_u32_e32 v7, 0x5b, v9
	s_waitcnt lgkmcnt(0)
	s_barrier
	ds_write_b128 v58, v[54:57] offset:2
	v_alignbit_b32 v54, v60, v60, 16
	v_alignbit_b32 v55, v59, v59, 16
	ds_write_b16 v58, v61
	ds_write_b64 v58, v[54:55] offset:18
	s_and_saveexec_b64 s[4:5], vcc
	s_cbranch_execz .LBB0_19
; %bb.18:
	v_add_f16_e32 v8, v10, v30
	v_add_f16_e32 v8, v8, v28
	;; [unrolled: 1-line block ×3, first 2 shown]
	v_sub_f16_e32 v23, v11, v23
	s_mov_b32 s7, 0xba95b770
	v_add_f16_e32 v8, v8, v26
	v_add_f16_e32 v30, v30, v34
	v_sub_f16_e32 v21, v12, v21
	v_pk_mul_f16 v12, v23, s7 op_sel_hi:[0,1]
	s_mov_b32 s8, 0xbb7bba95
	v_add_f16_e32 v8, v8, v24
	v_add_f16_e32 v28, v28, v33
	v_sub_f16_e32 v16, v16, v17
	v_pk_fma_f16 v11, v30, s6, v12 op_sel_hi:[0,1,1] neg_lo:[0,0,1] neg_hi:[0,0,1]
	s_mov_b32 s7, 0xb5ac388b
	v_pk_mul_f16 v17, v21, s8 op_sel_hi:[0,1]
	v_add_f16_e32 v8, v8, v22
	v_sub_f16_e32 v13, v13, v20
	v_sub_f16_e32 v15, v15, v18
	v_add_f16_e32 v18, v22, v25
	v_pk_add_f16 v11, v10, v11 op_sel_hi:[0,1]
	v_pk_fma_f16 v22, v28, s7, v17 op_sel_hi:[0,1,1] neg_lo:[0,0,1] neg_hi:[0,0,1]
	s_mov_b32 s9, 0xb3a8bbf1
	v_add_f16_e32 v27, v27, v32
	v_pk_add_f16 v11, v11, v22
	s_mov_b32 s8, 0xbbc42fb7
	v_pk_mul_f16 v22, v13, s9 op_sel_hi:[0,1]
	v_sub_f16_e32 v14, v14, v19
	v_add_f16_e32 v19, v24, v29
	v_pk_fma_f16 v24, v27, s8, v22 op_sel_hi:[0,1,1] neg_lo:[0,0,1] neg_hi:[0,0,1]
	s_mov_b32 s14, 0x394ebb7b
	v_add_f16_e32 v20, v26, v31
	v_pk_add_f16 v11, v11, v24
	s_mov_b32 s9, 0xb9fdb5ac
	v_pk_mul_f16 v24, v14, s14 op_sel_hi:[0,1]
	v_pk_fma_f16 v12, v30, s6, v12 op_sel_hi:[0,1,1]
	v_add_f16_e32 v8, v8, v25
	v_pk_fma_f16 v25, v20, s9, v24 op_sel_hi:[0,1,1] neg_lo:[0,0,1] neg_hi:[0,0,1]
	s_mov_b32 s15, 0x3bf1b94e
	v_pk_add_f16 v12, v10, v12 op_sel_hi:[0,1]
	v_pk_fma_f16 v17, v28, s7, v17 op_sel_hi:[0,1,1]
	v_pk_add_f16 v11, v11, v25
	s_mov_b32 s14, 0x2fb7b9fd
	v_pk_mul_f16 v25, v15, s15 op_sel_hi:[0,1]
	v_pk_add_f16 v12, v12, v17
	v_pk_fma_f16 v17, v27, s8, v22 op_sel_hi:[0,1,1]
	v_pk_fma_f16 v26, v19, s14, v25 op_sel_hi:[0,1,1] neg_lo:[0,0,1] neg_hi:[0,0,1]
	s_mov_b32 s16, 0x3770b3a8
	v_pk_add_f16 v12, v12, v17
	v_pk_fma_f16 v17, v20, s9, v24 op_sel_hi:[0,1,1]
	v_pk_add_f16 v11, v11, v26
	s_mov_b32 s15, 0x3b15bbc4
	v_pk_mul_f16 v26, v16, s16 op_sel_hi:[0,1]
	v_pk_add_f16 v12, v12, v17
	v_pk_fma_f16 v17, v19, s14, v25 op_sel_hi:[0,1,1]
	s_mov_b32 s7, 0xbb7bbbf1
	v_pk_add_f16 v12, v12, v17
	v_pk_fma_f16 v17, v18, s15, v26 op_sel_hi:[0,1,1]
	s_mov_b32 s6, 0xb5ac2fb7
	v_pk_mul_f16 v22, v23, s7 op_sel_hi:[0,1]
	s_mov_b32 s8, 0x394eb3a8
	v_pk_add_f16 v17, v12, v17
	v_pk_fma_f16 v12, v30, s6, v22 op_sel_hi:[0,1,1] neg_lo:[0,0,1] neg_hi:[0,0,1]
	s_mov_b32 s7, 0xb9fdbbc4
	v_pk_mul_f16 v24, v21, s8 op_sel_hi:[0,1]
	v_pk_add_f16 v12, v10, v12 op_sel_hi:[0,1]
	v_pk_fma_f16 v25, v28, s7, v24 op_sel_hi:[0,1,1] neg_lo:[0,0,1] neg_hi:[0,0,1]
	s_mov_b32 s9, 0x37703b7b
	v_pk_add_f16 v12, v12, v25
	s_mov_b32 s8, 0x3b15b5ac
	v_pk_mul_f16 v25, v13, s9 op_sel_hi:[0,1]
	v_add_f16_e32 v8, v29, v8
	v_pk_fma_f16 v29, v18, s15, v26 op_sel_hi:[0,1,1] neg_lo:[0,0,1] neg_hi:[0,0,1]
	v_pk_fma_f16 v26, v27, s8, v25 op_sel_hi:[0,1,1] neg_lo:[0,0,1] neg_hi:[0,0,1]
	s_mov_b32 s14, 0xbbf13770
	v_pk_add_f16 v12, v12, v26
	s_mov_b32 s9, 0x2fb73b15
	v_pk_mul_f16 v26, v14, s14 op_sel_hi:[0,1]
	v_pk_fma_f16 v22, v30, s6, v22 op_sel_hi:[0,1,1]
	v_pk_add_f16 v11, v11, v29
	v_pk_fma_f16 v29, v20, s9, v26 op_sel_hi:[0,1,1] neg_lo:[0,0,1] neg_hi:[0,0,1]
	s_mov_b32 s15, 0x33a8ba95
	v_pk_add_f16 v22, v10, v22 op_sel_hi:[0,1]
	v_pk_fma_f16 v24, v28, s7, v24 op_sel_hi:[0,1,1]
	v_pk_add_f16 v12, v12, v29
	s_mov_b32 s14, 0xbbc4388b
	v_pk_mul_f16 v29, v15, s15 op_sel_hi:[0,1]
	v_pk_add_f16 v22, v22, v24
	v_pk_fma_f16 v24, v27, s8, v25 op_sel_hi:[0,1,1]
	v_add_f16_e32 v8, v31, v8
	v_pk_fma_f16 v31, v19, s14, v29 op_sel_hi:[0,1,1] neg_lo:[0,0,1] neg_hi:[0,0,1]
	s_mov_b32 s16, 0x3a95b94e
	v_pk_add_f16 v22, v22, v24
	v_pk_fma_f16 v24, v20, s9, v26 op_sel_hi:[0,1,1]
	v_pk_add_f16 v12, v12, v31
	s_mov_b32 s15, 0x388bb9fd
	v_pk_mul_f16 v31, v16, s16 op_sel_hi:[0,1]
	v_pk_add_f16 v22, v22, v24
	v_pk_fma_f16 v24, v19, s14, v29 op_sel_hi:[0,1,1]
	s_mov_b32 s7, 0xb3a8b94e
	v_pk_add_f16 v22, v22, v24
	v_pk_fma_f16 v24, v18, s15, v31 op_sel_hi:[0,1,1]
	s_mov_b32 s6, 0xbbc4b9fd
	v_pk_mul_f16 v23, v23, s7 op_sel_hi:[0,1]
	s_mov_b32 s8, 0x37703bf1
	v_pk_add_f16 v22, v22, v24
	v_pk_fma_f16 v24, v30, s6, v23 op_sel_hi:[0,1,1] neg_lo:[0,0,1] neg_hi:[0,0,1]
	s_mov_b32 s7, 0x3b152fb7
	v_pk_mul_f16 v21, v21, s8 op_sel_hi:[0,1]
	v_pk_add_f16 v24, v10, v24 op_sel_hi:[0,1]
	v_pk_fma_f16 v25, v28, s7, v21 op_sel_hi:[0,1,1] neg_lo:[0,0,1] neg_hi:[0,0,1]
	s_mov_b32 s9, 0xb94eba95
	v_pk_fma_f16 v23, v30, s6, v23 op_sel_hi:[0,1,1]
	v_pk_add_f16 v24, v24, v25
	s_mov_b32 s8, 0xb9fd388b
	v_pk_mul_f16 v25, v13, s9 op_sel_hi:[0,1]
	s_mov_b32 s14, 0x3a9533a8
	v_pk_add_f16 v10, v10, v23 op_sel_hi:[0,1]
	v_pk_fma_f16 v21, v28, s7, v21 op_sel_hi:[0,1,1]
	v_add_f16_e32 v8, v32, v8
	v_pk_fma_f16 v32, v18, s15, v31 op_sel_hi:[0,1,1] neg_lo:[0,0,1] neg_hi:[0,0,1]
	v_pk_fma_f16 v13, v27, s8, v25 op_sel_hi:[0,1,1] neg_lo:[0,0,1] neg_hi:[0,0,1]
	s_mov_b32 s9, 0x388bbbc4
	v_pk_mul_f16 v14, v14, s14 op_sel_hi:[0,1]
	s_mov_b32 s15, 0xbb7b3770
	v_pk_add_f16 v10, v10, v21
	v_pk_fma_f16 v21, v27, s8, v25 op_sel_hi:[0,1,1]
	v_pk_add_f16 v13, v24, v13
	v_pk_fma_f16 v24, v20, s9, v14 op_sel_hi:[0,1,1] neg_lo:[0,0,1] neg_hi:[0,0,1]
	s_mov_b32 s14, 0xb5ac3b15
	v_pk_mul_f16 v15, v15, s15 op_sel_hi:[0,1]
	s_mov_b32 s16, 0x3bf1bb7b
	v_pk_add_f16 v10, v10, v21
	v_pk_fma_f16 v14, v20, s9, v14 op_sel_hi:[0,1,1]
	s_mov_b32 s15, 0x2fb7b5ac
	v_pk_mul_f16 v16, v16, s16 op_sel_hi:[0,1]
	v_pk_add_f16 v10, v10, v14
	v_pk_fma_f16 v14, v19, s14, v15 op_sel_hi:[0,1,1]
	v_pk_add_f16 v13, v13, v24
	v_pk_fma_f16 v24, v19, s14, v15 op_sel_hi:[0,1,1] neg_lo:[0,0,1] neg_hi:[0,0,1]
	v_pk_add_f16 v10, v10, v14
	v_pk_fma_f16 v14, v18, s15, v16 op_sel_hi:[0,1,1]
	v_pk_add_f16 v13, v13, v24
	v_pk_fma_f16 v24, v18, s15, v16 op_sel_hi:[0,1,1] neg_lo:[0,0,1] neg_hi:[0,0,1]
	v_pk_add_f16 v10, v10, v14
	v_add_f16_e32 v8, v33, v8
	v_pk_add_f16 v12, v12, v32
	v_pk_add_f16 v13, v13, v24
	v_mad_u32_u24 v15, v7, 26, 0
	v_alignbit_b32 v14, v10, v10, 16
	v_add_f16_e32 v8, v34, v8
	ds_write_b128 v15, v[11:14] offset:2
	v_alignbit_b32 v10, v22, v22, 16
	v_alignbit_b32 v11, v17, v17, 16
	ds_write_b16 v15, v8
	ds_write_b64 v15, v[10:11] offset:18
.LBB0_19:
	s_or_b64 exec, exec, s[4:5]
	s_movk_i32 s4, 0x4f
	v_mul_lo_u16_sdwa v8, v9, s4 dst_sel:DWORD dst_unused:UNUSED_PAD src0_sel:BYTE_0 src1_sel:DWORD
	v_mul_lo_u16_sdwa v15, v7, s4 dst_sel:DWORD dst_unused:UNUSED_PAD src0_sel:BYTE_0 src1_sel:DWORD
	v_lshrrev_b16_e32 v28, 10, v8
	v_lshrrev_b16_e32 v30, 10, v15
	v_mul_lo_u16_e32 v8, 13, v28
	v_mul_lo_u16_e32 v15, 13, v30
	v_sub_u16_e32 v29, v9, v8
	v_mov_b32_e32 v8, 6
	v_sub_u16_e32 v31, v7, v15
	v_mul_u32_u24_sdwa v10, v29, v8 dst_sel:DWORD dst_unused:UNUSED_PAD src0_sel:BYTE_0 src1_sel:DWORD
	v_mul_u32_u24_sdwa v8, v31, v8 dst_sel:DWORD dst_unused:UNUSED_PAD src0_sel:BYTE_0 src1_sel:DWORD
	v_lshlrev_b32_e32 v14, 2, v10
	v_lshlrev_b32_e32 v18, 2, v8
	v_add_u32_e32 v8, 0xb6, v9
	s_movk_i32 s4, 0x4ec5
	s_waitcnt lgkmcnt(0)
	s_barrier
	global_load_dwordx4 v[10:13], v14, s[12:13]
	global_load_dwordx2 v[22:23], v14, s[12:13] offset:16
	global_load_dwordx2 v[24:25], v18, s[12:13] offset:16
	s_movk_i32 s5, 0x2b26
	global_load_dwordx4 v[14:17], v18, s[12:13]
	v_mul_u32_u24_sdwa v18, v8, s4 dst_sel:DWORD dst_unused:UNUSED_PAD src0_sel:WORD_0 src1_sel:DWORD
	v_lshrrev_b32_e32 v32, 18, v18
	v_mul_lo_u16_e32 v18, 13, v32
	v_sub_u16_e32 v33, v8, v18
	v_mul_u32_u24_e32 v18, 6, v33
	v_lshlrev_b32_e32 v26, 2, v18
	global_load_dwordx4 v[18:21], v26, s[12:13]
	ds_read_u16 v34, v0
	ds_read_u16 v54, v0 offset:182
	ds_read_u16 v55, v0 offset:728
	;; [unrolled: 1-line block ×5, first 2 shown]
	global_load_dwordx2 v[26:27], v26, s[12:13] offset:16
	ds_read_u16 v59, v0 offset:2912
	ds_read_u16 v60, v0 offset:1092
	;; [unrolled: 1-line block ×15, first 2 shown]
	s_mov_b32 s4, 0xbb00
	s_mov_b32 s6, 0xbcab
	s_movk_i32 s7, 0x39e0
	s_mov_b32 s9, 0xb9e0
	s_mov_b32 s14, 0xb574
	s_movk_i32 s15, 0x3574
	s_mov_b32 s8, 0xb70e
	v_mul_u32_u24_e32 v28, 0xb6, v28
	s_waitcnt vmcnt(0) lgkmcnt(0)
	s_barrier
	s_movk_i32 s16, 0x6817
	v_mul_f16_sdwa v74, v62, v10 dst_sel:DWORD dst_unused:UNUSED_PAD src0_sel:DWORD src1_sel:WORD_1
	v_mul_f16_sdwa v75, v50, v10 dst_sel:DWORD dst_unused:UNUSED_PAD src0_sel:DWORD src1_sel:WORD_1
	;; [unrolled: 1-line block ×7, first 2 shown]
	v_fma_f16 v46, v46, v14, v86
	v_fma_f16 v14, v55, v14, -v87
	v_fma_f16 v55, v43, v17, v92
	v_mul_f16_sdwa v43, v43, v17 dst_sel:DWORD dst_unused:UNUSED_PAD src0_sel:DWORD src1_sel:WORD_1
	v_fma_f16 v17, v58, v17, -v43
	v_mul_f16_sdwa v43, v59, v24 dst_sel:DWORD dst_unused:UNUSED_PAD src0_sel:DWORD src1_sel:WORD_1
	v_fma_f16 v43, v41, v24, v43
	v_mul_f16_sdwa v41, v41, v24 dst_sel:DWORD dst_unused:UNUSED_PAD src0_sel:DWORD src1_sel:WORD_1
	v_fma_f16 v24, v59, v24, -v41
	v_mul_f16_sdwa v41, v70, v25 dst_sel:DWORD dst_unused:UNUSED_PAD src0_sel:DWORD src1_sel:WORD_1
	;; [unrolled: 4-line block ×7, first 2 shown]
	v_fma_f16 v37, v38, v26, v37
	v_mul_f16_sdwa v38, v38, v26 dst_sel:DWORD dst_unused:UNUSED_PAD src0_sel:DWORD src1_sel:WORD_1
	v_mul_f16_sdwa v82, v64, v22 dst_sel:DWORD dst_unused:UNUSED_PAD src0_sel:DWORD src1_sel:WORD_1
	;; [unrolled: 1-line block ×5, first 2 shown]
	v_fma_f16 v26, v73, v26, -v38
	v_mul_f16_sdwa v38, v71, v27 dst_sel:DWORD dst_unused:UNUSED_PAD src0_sel:DWORD src1_sel:WORD_1
	v_mul_f16_sdwa v78, v68, v12 dst_sel:DWORD dst_unused:UNUSED_PAD src0_sel:DWORD src1_sel:WORD_1
	;; [unrolled: 1-line block ×7, first 2 shown]
	v_fma_f16 v50, v50, v10, v74
	v_fma_f16 v10, v62, v10, -v75
	v_fma_f16 v48, v48, v11, v76
	v_fma_f16 v11, v60, v11, -v77
	;; [unrolled: 2-line block ×4, first 2 shown]
	v_fma_f16 v38, v36, v27, v38
	v_mul_f16_sdwa v36, v36, v27 dst_sel:DWORD dst_unused:UNUSED_PAD src0_sel:DWORD src1_sel:WORD_1
	v_fma_f16 v53, v53, v12, v78
	v_fma_f16 v12, v68, v12, -v79
	v_fma_f16 v51, v51, v13, v80
	v_fma_f16 v13, v66, v13, -v81
	v_fma_f16 v45, v45, v15, v88
	v_fma_f16 v15, v56, v15, -v89
	v_fma_f16 v27, v71, v27, -v36
	v_add_f16_e32 v36, v50, v52
	v_add_f16_e32 v56, v10, v23
	v_sub_f16_e32 v50, v50, v52
	v_sub_f16_e32 v10, v10, v23
	v_add_f16_e32 v23, v48, v49
	v_add_f16_e32 v52, v11, v22
	v_mul_f16_sdwa v90, v57, v16 dst_sel:DWORD dst_unused:UNUSED_PAD src0_sel:DWORD src1_sel:WORD_1
	v_mul_f16_sdwa v91, v44, v16 dst_sel:DWORD dst_unused:UNUSED_PAD src0_sel:DWORD src1_sel:WORD_1
	v_sub_f16_e32 v48, v48, v49
	v_sub_f16_e32 v11, v11, v22
	v_add_f16_e32 v22, v53, v51
	v_add_f16_e32 v49, v12, v13
	v_sub_f16_e32 v51, v51, v53
	v_sub_f16_e32 v12, v13, v12
	v_add_f16_e32 v13, v23, v36
	v_add_f16_e32 v53, v52, v56
	v_fma_f16 v44, v44, v16, v90
	v_fma_f16 v16, v57, v16, -v91
	v_sub_f16_e32 v57, v23, v36
	v_sub_f16_e32 v58, v52, v56
	;; [unrolled: 1-line block ×6, first 2 shown]
	v_add_f16_e32 v59, v51, v48
	v_add_f16_e32 v60, v12, v11
	v_sub_f16_e32 v61, v51, v48
	v_sub_f16_e32 v62, v12, v11
	;; [unrolled: 1-line block ×4, first 2 shown]
	v_add_f16_e32 v13, v22, v13
	v_add_f16_e32 v22, v49, v53
	v_sub_f16_e32 v51, v50, v51
	v_sub_f16_e32 v12, v10, v12
	v_add_f16_e32 v49, v59, v50
	v_add_f16_e32 v10, v60, v10
	v_add_f16_e32 v35, v35, v13
	v_add_f16_e32 v34, v34, v22
	v_mul_f16_e32 v36, 0x3a52, v36
	v_mul_f16_e32 v50, 0x3a52, v56
	;; [unrolled: 1-line block ×8, first 2 shown]
	v_fma_f16 v13, v13, s6, v35
	v_fma_f16 v22, v22, s6, v34
	;; [unrolled: 1-line block ×4, first 2 shown]
	v_fma_f16 v53, v57, s7, -v53
	v_fma_f16 v56, v58, s7, -v56
	;; [unrolled: 1-line block ×4, first 2 shown]
	v_fma_f16 v57, v51, s14, v59
	v_fma_f16 v58, v12, s14, v60
	v_fma_f16 v48, v48, s4, -v59
	v_fma_f16 v11, v11, s4, -v60
	v_fma_f16 v51, v51, s15, -v61
	v_fma_f16 v12, v12, s15, -v62
	v_add_f16_e32 v23, v23, v13
	v_add_f16_e32 v52, v52, v22
	v_add_f16_e32 v53, v53, v13
	v_add_f16_e32 v56, v56, v22
	v_add_f16_e32 v13, v36, v13
	v_add_f16_e32 v22, v50, v22
	v_fma_f16 v36, v49, s8, v57
	v_fma_f16 v50, v10, s8, v58
	;; [unrolled: 1-line block ×6, first 2 shown]
	v_add_f16_e32 v12, v50, v23
	v_sub_f16_e32 v51, v52, v36
	v_add_f16_e32 v57, v10, v13
	v_sub_f16_e32 v58, v22, v49
	v_sub_f16_e32 v10, v13, v10
	v_add_f16_e32 v13, v49, v22
	v_sub_f16_e32 v22, v23, v50
	v_add_f16_e32 v23, v36, v52
	v_add_f16_e32 v36, v46, v41
	;; [unrolled: 1-line block ×3, first 2 shown]
	v_sub_f16_e32 v41, v46, v41
	v_sub_f16_e32 v14, v14, v25
	v_add_f16_e32 v25, v45, v43
	v_add_f16_e32 v46, v15, v24
	v_sub_f16_e32 v43, v45, v43
	v_sub_f16_e32 v15, v15, v24
	v_add_f16_e32 v24, v44, v55
	v_add_f16_e32 v45, v16, v17
	;; [unrolled: 4-line block ×3, first 2 shown]
	v_sub_f16_e32 v59, v53, v11
	v_add_f16_e32 v60, v48, v56
	v_add_f16_e32 v11, v11, v53
	v_sub_f16_e32 v48, v56, v48
	v_sub_f16_e32 v52, v25, v36
	;; [unrolled: 1-line block ×7, first 2 shown]
	v_add_f16_e32 v55, v44, v43
	v_add_f16_e32 v56, v16, v15
	v_sub_f16_e32 v61, v44, v43
	v_sub_f16_e32 v62, v16, v15
	;; [unrolled: 1-line block ×4, first 2 shown]
	v_add_f16_e32 v17, v24, v17
	v_add_f16_e32 v24, v45, v50
	v_sub_f16_e32 v44, v41, v44
	v_sub_f16_e32 v16, v14, v16
	v_add_f16_e32 v41, v55, v41
	v_add_f16_e32 v14, v56, v14
	;; [unrolled: 1-line block ×4, first 2 shown]
	v_mul_f16_e32 v36, 0x3a52, v36
	v_mul_f16_e32 v49, 0x3a52, v49
	v_mul_f16_e32 v50, 0x2b26, v25
	v_mul_f16_e32 v54, 0x2b26, v46
	v_mul_f16_e32 v55, 0x3846, v61
	v_mul_f16_e32 v56, 0x3846, v62
	v_mul_f16_e32 v61, 0xbb00, v43
	v_mul_f16_e32 v62, 0xbb00, v15
	v_fma_f16 v17, v17, s6, v6
	v_fma_f16 v24, v24, s6, v45
	;; [unrolled: 1-line block ×4, first 2 shown]
	v_fma_f16 v50, v52, s7, -v50
	v_fma_f16 v54, v53, s7, -v54
	;; [unrolled: 1-line block ×4, first 2 shown]
	v_fma_f16 v52, v44, s14, v55
	v_fma_f16 v53, v16, s14, v56
	v_fma_f16 v43, v43, s4, -v55
	v_fma_f16 v15, v15, s4, -v56
	;; [unrolled: 1-line block ×4, first 2 shown]
	v_add_f16_e32 v25, v25, v17
	v_add_f16_e32 v46, v46, v24
	;; [unrolled: 1-line block ×6, first 2 shown]
	v_fma_f16 v36, v41, s8, v52
	v_fma_f16 v49, v14, s8, v53
	;; [unrolled: 1-line block ×6, first 2 shown]
	v_add_f16_e32 v16, v49, v25
	v_sub_f16_e32 v44, v46, v36
	v_add_f16_e32 v52, v14, v17
	v_sub_f16_e32 v53, v24, v41
	v_sub_f16_e32 v14, v17, v14
	v_add_f16_e32 v17, v41, v24
	v_sub_f16_e32 v24, v25, v49
	v_add_f16_e32 v25, v36, v46
	v_add_f16_e32 v36, v47, v38
	;; [unrolled: 1-line block ×3, first 2 shown]
	v_sub_f16_e32 v18, v18, v27
	v_add_f16_e32 v27, v39, v37
	v_add_f16_e32 v46, v19, v26
	v_sub_f16_e32 v38, v47, v38
	v_sub_f16_e32 v37, v39, v37
	;; [unrolled: 1-line block ×3, first 2 shown]
	v_add_f16_e32 v26, v42, v40
	v_add_f16_e32 v39, v20, v21
	v_sub_f16_e32 v40, v40, v42
	v_sub_f16_e32 v20, v21, v20
	v_add_f16_e32 v21, v27, v36
	v_add_f16_e32 v42, v46, v41
	v_sub_f16_e32 v55, v50, v15
	v_add_f16_e32 v56, v43, v54
	v_add_f16_e32 v15, v15, v50
	v_sub_f16_e32 v43, v54, v43
	v_sub_f16_e32 v47, v27, v36
	v_sub_f16_e32 v49, v46, v41
	v_sub_f16_e32 v36, v36, v26
	v_sub_f16_e32 v41, v41, v39
	v_sub_f16_e32 v27, v26, v27
	v_sub_f16_e32 v46, v39, v46
	v_add_f16_e32 v50, v40, v37
	v_add_f16_e32 v54, v20, v19
	v_sub_f16_e32 v61, v40, v37
	v_sub_f16_e32 v62, v20, v19
	;; [unrolled: 1-line block ×4, first 2 shown]
	v_add_f16_e32 v21, v26, v21
	v_add_f16_e32 v26, v39, v42
	v_sub_f16_e32 v40, v38, v40
	v_sub_f16_e32 v20, v18, v20
	v_add_f16_e32 v38, v50, v38
	v_add_f16_e32 v18, v54, v18
	v_add_f16_e32 v5, v5, v21
	v_add_f16_e32 v39, v63, v26
	v_mul_f16_e32 v36, 0x3a52, v36
	v_mul_f16_e32 v41, 0x3a52, v41
	;; [unrolled: 1-line block ×8, first 2 shown]
	v_fma_f16 v21, v21, s6, v5
	v_fma_f16 v26, v26, s6, v39
	;; [unrolled: 1-line block ×4, first 2 shown]
	v_fma_f16 v42, v47, s7, -v42
	v_fma_f16 v50, v49, s7, -v50
	;; [unrolled: 1-line block ×4, first 2 shown]
	v_fma_f16 v47, v40, s14, v54
	v_fma_f16 v49, v20, s14, v61
	v_fma_f16 v37, v37, s4, -v54
	v_fma_f16 v19, v19, s4, -v61
	;; [unrolled: 1-line block ×4, first 2 shown]
	v_add_f16_e32 v27, v27, v21
	v_add_f16_e32 v46, v46, v26
	;; [unrolled: 1-line block ×6, first 2 shown]
	v_fma_f16 v36, v38, s8, v47
	v_fma_f16 v41, v18, s8, v49
	;; [unrolled: 1-line block ×6, first 2 shown]
	v_add_f16_e32 v20, v41, v27
	v_sub_f16_e32 v40, v46, v36
	v_add_f16_e32 v47, v18, v21
	v_sub_f16_e32 v49, v26, v38
	v_sub_f16_e32 v18, v21, v18
	v_add_f16_e32 v21, v38, v26
	v_sub_f16_e32 v26, v27, v41
	v_add_f16_e32 v27, v36, v46
	v_mov_b32_e32 v36, 1
	v_lshlrev_b32_sdwa v29, v36, v29 dst_sel:DWORD dst_unused:UNUSED_PAD src0_sel:DWORD src1_sel:BYTE_0
	v_add3_u32 v28, 0, v28, v29
	ds_write_b16 v28, v35
	ds_write_b16 v28, v12 offset:26
	ds_write_b16 v28, v57 offset:52
	;; [unrolled: 1-line block ×6, first 2 shown]
	v_mul_u32_u24_e32 v10, 0xb6, v30
	v_lshlrev_b32_sdwa v11, v36, v31 dst_sel:DWORD dst_unused:UNUSED_PAD src0_sel:DWORD src1_sel:BYTE_0
	v_add3_u32 v10, 0, v10, v11
	ds_write_b16 v10, v6
	ds_write_b16 v10, v16 offset:26
	ds_write_b16 v10, v52 offset:52
	;; [unrolled: 1-line block ×6, first 2 shown]
	v_mul_u32_u24_e32 v6, 0xb6, v32
	v_lshlrev_b32_e32 v11, 1, v33
	v_add3_u32 v6, 0, v6, v11
	v_sub_f16_e32 v54, v42, v19
	v_add_f16_e32 v19, v19, v42
	ds_write_b16 v6, v5
	ds_write_b16 v6, v20 offset:26
	ds_write_b16 v6, v47 offset:52
	;; [unrolled: 1-line block ×6, first 2 shown]
	v_mul_u32_u24_e32 v5, 6, v9
	v_lshlrev_b32_e32 v14, 2, v5
	v_add_f16_e32 v61, v37, v50
	v_sub_f16_e32 v37, v50, v37
	s_waitcnt lgkmcnt(0)
	s_barrier
	ds_read_u16 v20, v0
	ds_read_u16 v22, v0 offset:182
	ds_read_u16 v24, v0 offset:728
	ds_read_u16 v26, v0 offset:1274
	ds_read_u16 v29, v0 offset:1820
	ds_read_u16 v30, v0 offset:2366
	ds_read_u16 v31, v0 offset:2912
	ds_read_u16 v32, v0 offset:1092
	ds_read_u16 v33, v0 offset:910
	ds_read_u16 v35, v0 offset:546
	ds_read_u16 v36, v0 offset:364
	ds_read_u16 v38, v0 offset:2730
	ds_read_u16 v41, v0 offset:2548
	ds_read_u16 v42, v0 offset:2184
	ds_read_u16 v46, v0 offset:2002
	ds_read_u16 v47, v0 offset:1638
	ds_read_u16 v50, v0 offset:1456
	ds_read_u16 v52, v0 offset:3458
	ds_read_u16 v54, v0 offset:3640
	ds_read_u16 v55, v0 offset:3276
	ds_read_u16 v57, v0 offset:3094
	s_waitcnt lgkmcnt(0)
	s_barrier
	ds_write_b16 v28, v34
	ds_write_b16 v28, v51 offset:26
	ds_write_b16 v28, v58 offset:52
	ds_write_b16 v28, v60 offset:78
	ds_write_b16 v28, v48 offset:104
	ds_write_b16 v28, v13 offset:130
	ds_write_b16 v28, v23 offset:156
	ds_write_b16 v10, v45
	ds_write_b16 v10, v44 offset:26
	ds_write_b16 v10, v53 offset:52
	ds_write_b16 v10, v56 offset:78
	ds_write_b16 v10, v43 offset:104
	ds_write_b16 v10, v17 offset:130
	ds_write_b16 v10, v25 offset:156
	;; [unrolled: 7-line block ×3, first 2 shown]
	s_waitcnt lgkmcnt(0)
	s_barrier
	global_load_dwordx4 v[10:13], v14, s[12:13] offset:312
	global_load_dwordx2 v[5:6], v14, s[12:13] offset:328
	v_mul_u32_u24_sdwa v14, v8, s16 dst_sel:DWORD dst_unused:UNUSED_PAD src0_sel:WORD_0 src1_sel:DWORD
	v_sub_u16_sdwa v15, v8, v14 dst_sel:DWORD dst_unused:UNUSED_PAD src0_sel:DWORD src1_sel:WORD_1
	v_lshrrev_b16_e32 v15, 1, v15
	v_add_u16_sdwa v14, v15, v14 dst_sel:DWORD dst_unused:UNUSED_PAD src0_sel:DWORD src1_sel:WORD_1
	v_lshrrev_b16_e32 v14, 6, v14
	v_mul_lo_u16_e32 v14, 0x5b, v14
	v_sub_u16_e32 v21, v8, v14
	v_mul_u32_u24_e32 v14, 6, v21
	v_lshlrev_b32_e32 v18, 2, v14
	global_load_dwordx4 v[14:17], v18, s[12:13] offset:312
	ds_read_u16 v23, v0
	ds_read_u16 v25, v0 offset:182
	ds_read_u16 v27, v0 offset:728
	;; [unrolled: 1-line block ×5, first 2 shown]
	global_load_dwordx2 v[18:19], v18, s[12:13] offset:328
	ds_read_u16 v39, v0 offset:2912
	ds_read_u16 v40, v0 offset:1092
	;; [unrolled: 1-line block ×15, first 2 shown]
	s_waitcnt vmcnt(0) lgkmcnt(0)
	s_barrier
	v_mul_f16_sdwa v63, v44, v10 dst_sel:DWORD dst_unused:UNUSED_PAD src0_sel:DWORD src1_sel:WORD_1
	v_fma_f16 v63, v35, v10, v63
	v_mul_f16_sdwa v35, v35, v10 dst_sel:DWORD dst_unused:UNUSED_PAD src0_sel:DWORD src1_sel:WORD_1
	v_fma_f16 v35, v44, v10, -v35
	v_mul_f16_sdwa v44, v40, v11 dst_sel:DWORD dst_unused:UNUSED_PAD src0_sel:DWORD src1_sel:WORD_1
	v_fma_f16 v44, v32, v11, v44
	v_mul_f16_sdwa v32, v32, v11 dst_sel:DWORD dst_unused:UNUSED_PAD src0_sel:DWORD src1_sel:WORD_1
	v_fma_f16 v32, v40, v11, -v32
	;; [unrolled: 4-line block ×8, first 2 shown]
	v_mul_f16_sdwa v26, v34, v12 dst_sel:DWORD dst_unused:UNUSED_PAD src0_sel:DWORD src1_sel:WORD_1
	v_mul_f16_sdwa v27, v29, v12 dst_sel:DWORD dst_unused:UNUSED_PAD src0_sel:DWORD src1_sel:WORD_1
	v_fma_f16 v26, v29, v12, v26
	v_fma_f16 v12, v34, v12, -v27
	v_mul_f16_sdwa v27, v37, v13 dst_sel:DWORD dst_unused:UNUSED_PAD src0_sel:DWORD src1_sel:WORD_1
	v_mul_f16_sdwa v28, v30, v13 dst_sel:DWORD dst_unused:UNUSED_PAD src0_sel:DWORD src1_sel:WORD_1
	v_fma_f16 v27, v30, v13, v27
	v_fma_f16 v13, v37, v13, -v28
	;; [unrolled: 4-line block ×10, first 2 shown]
	v_add_f16_e32 v41, v63, v48
	v_add_f16_e32 v43, v35, v55
	v_sub_f16_e32 v46, v63, v48
	v_add_f16_e32 v48, v44, v51
	v_add_f16_e32 v49, v32, v38
	v_sub_f16_e32 v35, v35, v55
	v_sub_f16_e32 v44, v44, v51
	;; [unrolled: 1-line block ×3, first 2 shown]
	v_add_f16_e32 v38, v40, v56
	v_add_f16_e32 v50, v47, v42
	v_sub_f16_e32 v40, v56, v40
	v_sub_f16_e32 v42, v42, v47
	v_add_f16_e32 v47, v48, v41
	v_add_f16_e32 v51, v49, v43
	v_sub_f16_e32 v52, v48, v41
	v_sub_f16_e32 v53, v49, v43
	;; [unrolled: 1-line block ×6, first 2 shown]
	v_add_f16_e32 v54, v40, v44
	v_add_f16_e32 v55, v42, v32
	v_sub_f16_e32 v56, v40, v44
	v_sub_f16_e32 v57, v42, v32
	;; [unrolled: 1-line block ×4, first 2 shown]
	v_add_f16_e32 v38, v38, v47
	v_add_f16_e32 v47, v50, v51
	v_sub_f16_e32 v40, v46, v40
	v_sub_f16_e32 v42, v35, v42
	v_add_f16_e32 v46, v54, v46
	v_add_f16_e32 v35, v55, v35
	;; [unrolled: 1-line block ×4, first 2 shown]
	v_mul_f16_e32 v23, 0x3a52, v41
	v_mul_f16_e32 v41, 0x3a52, v43
	;; [unrolled: 1-line block ×8, first 2 shown]
	v_fma_f16 v38, v38, s6, v20
	v_fma_f16 v47, v47, s6, v50
	;; [unrolled: 1-line block ×4, first 2 shown]
	v_fma_f16 v43, v52, s7, -v43
	v_fma_f16 v51, v53, s7, -v51
	;; [unrolled: 1-line block ×4, first 2 shown]
	v_fma_f16 v52, v40, s14, v54
	v_fma_f16 v53, v42, s14, v55
	v_fma_f16 v44, v44, s4, -v54
	v_fma_f16 v32, v32, s4, -v55
	;; [unrolled: 1-line block ×4, first 2 shown]
	v_add_f16_e32 v48, v48, v38
	v_add_f16_e32 v49, v49, v47
	;; [unrolled: 1-line block ×6, first 2 shown]
	v_fma_f16 v41, v46, s8, v52
	v_fma_f16 v47, v35, s8, v53
	;; [unrolled: 1-line block ×6, first 2 shown]
	v_add_f16_e32 v42, v47, v48
	v_sub_f16_e32 v46, v49, v41
	v_add_f16_e32 v52, v35, v23
	v_sub_f16_e32 v53, v38, v40
	v_sub_f16_e32 v54, v43, v32
	v_add_f16_e32 v55, v44, v51
	v_add_f16_e32 v32, v32, v43
	v_sub_f16_e32 v43, v51, v44
	v_sub_f16_e32 v23, v23, v35
	v_add_f16_e32 v35, v40, v38
	v_sub_f16_e32 v38, v48, v47
	v_add_f16_e32 v40, v41, v49
	v_add_f16_e32 v41, v61, v29
	;; [unrolled: 1-line block ×3, first 2 shown]
	v_sub_f16_e32 v6, v10, v6
	v_add_f16_e32 v10, v24, v28
	v_add_f16_e32 v47, v11, v5
	v_sub_f16_e32 v29, v61, v29
	v_sub_f16_e32 v24, v24, v28
	;; [unrolled: 1-line block ×3, first 2 shown]
	v_add_f16_e32 v11, v26, v27
	v_add_f16_e32 v28, v12, v13
	v_sub_f16_e32 v26, v27, v26
	v_sub_f16_e32 v12, v13, v12
	v_add_f16_e32 v13, v10, v41
	v_add_f16_e32 v27, v47, v44
	v_sub_f16_e32 v48, v10, v41
	v_sub_f16_e32 v49, v47, v44
	;; [unrolled: 1-line block ×6, first 2 shown]
	v_add_f16_e32 v51, v26, v24
	v_add_f16_e32 v56, v12, v5
	v_sub_f16_e32 v57, v26, v24
	v_sub_f16_e32 v58, v12, v5
	;; [unrolled: 1-line block ×4, first 2 shown]
	v_add_f16_e32 v11, v11, v13
	v_add_f16_e32 v13, v28, v27
	v_sub_f16_e32 v26, v29, v26
	v_sub_f16_e32 v12, v6, v12
	v_add_f16_e32 v27, v51, v29
	v_add_f16_e32 v6, v56, v6
	;; [unrolled: 1-line block ×4, first 2 shown]
	v_mul_f16_e32 v25, 0x3a52, v41
	v_mul_f16_e32 v28, 0x3a52, v44
	;; [unrolled: 1-line block ×8, first 2 shown]
	v_fma_f16 v11, v11, s6, v22
	v_fma_f16 v13, v13, s6, v51
	;; [unrolled: 1-line block ×4, first 2 shown]
	v_fma_f16 v29, v48, s7, -v29
	v_fma_f16 v41, v49, s7, -v41
	;; [unrolled: 1-line block ×4, first 2 shown]
	v_fma_f16 v48, v26, s14, v44
	v_fma_f16 v49, v12, s14, v56
	v_fma_f16 v5, v5, s4, -v56
	v_fma_f16 v26, v26, s15, -v57
	;; [unrolled: 1-line block ×4, first 2 shown]
	v_add_f16_e32 v10, v10, v11
	v_add_f16_e32 v44, v47, v13
	v_add_f16_e32 v29, v29, v11
	v_add_f16_e32 v41, v41, v13
	v_add_f16_e32 v11, v25, v11
	v_add_f16_e32 v13, v28, v13
	v_fma_f16 v28, v6, s8, v49
	v_fma_f16 v5, v6, s8, v5
	;; [unrolled: 1-line block ×6, first 2 shown]
	v_add_f16_e32 v27, v6, v11
	v_sub_f16_e32 v48, v13, v26
	v_sub_f16_e32 v6, v11, v6
	v_add_f16_e32 v57, v26, v13
	v_add_f16_e32 v11, v30, v39
	;; [unrolled: 1-line block ×3, first 2 shown]
	v_sub_f16_e32 v14, v14, v19
	v_add_f16_e32 v19, v31, v37
	v_add_f16_e32 v12, v28, v10
	v_sub_f16_e32 v47, v44, v25
	v_sub_f16_e32 v49, v29, v5
	v_add_f16_e32 v5, v5, v29
	v_sub_f16_e32 v10, v10, v28
	v_add_f16_e32 v44, v25, v44
	v_add_f16_e32 v25, v15, v18
	v_sub_f16_e32 v26, v31, v37
	v_sub_f16_e32 v15, v15, v18
	v_add_f16_e32 v18, v33, v34
	v_add_f16_e32 v28, v16, v17
	v_sub_f16_e32 v29, v34, v33
	;; [unrolled: 4-line block ×3, first 2 shown]
	v_sub_f16_e32 v24, v30, v39
	v_add_f16_e32 v30, v25, v13
	v_sub_f16_e32 v31, v19, v11
	v_sub_f16_e32 v19, v18, v19
	v_add_f16_e32 v37, v16, v15
	v_sub_f16_e32 v39, v29, v26
	;; [unrolled: 3-line block ×3, first 2 shown]
	v_sub_f16_e32 v11, v11, v18
	v_sub_f16_e32 v13, v13, v28
	;; [unrolled: 1-line block ×3, first 2 shown]
	v_add_f16_e32 v34, v29, v26
	v_sub_f16_e32 v16, v14, v16
	v_sub_f16_e32 v26, v26, v24
	;; [unrolled: 1-line block ×3, first 2 shown]
	v_add_f16_e32 v18, v28, v30
	v_add_f16_e32 v14, v37, v14
	;; [unrolled: 1-line block ×3, first 2 shown]
	v_mul_f16_e32 v30, 0x2b26, v19
	v_mul_f16_e32 v37, 0x3846, v39
	;; [unrolled: 1-line block ×3, first 2 shown]
	v_sub_f16_e32 v29, v24, v29
	v_add_f16_e32 v24, v34, v24
	v_add_f16_e32 v34, v45, v18
	v_mul_f16_e32 v11, 0x3a52, v11
	v_mul_f16_e32 v13, 0x3a52, v13
	;; [unrolled: 1-line block ×5, first 2 shown]
	v_fma_f16 v17, v17, s6, v28
	v_fma_f16 v30, v31, s7, -v30
	v_fma_f16 v15, v15, s4, -v39
	v_fma_f16 v18, v18, s6, v34
	v_fma_f16 v19, v19, s5, v11
	;; [unrolled: 1-line block ×3, first 2 shown]
	v_fma_f16 v36, v33, s7, -v36
	v_fma_f16 v11, v31, s9, -v11
	;; [unrolled: 1-line block ×3, first 2 shown]
	v_fma_f16 v31, v29, s14, v37
	v_fma_f16 v33, v16, s14, v39
	v_fma_f16 v26, v26, s4, -v37
	v_fma_f16 v29, v29, s15, -v45
	;; [unrolled: 1-line block ×3, first 2 shown]
	v_add_f16_e32 v30, v30, v17
	v_fma_f16 v15, v14, s8, v15
	v_add_f16_e32 v19, v19, v17
	v_add_f16_e32 v25, v25, v18
	;; [unrolled: 1-line block ×5, first 2 shown]
	v_fma_f16 v17, v24, s8, v31
	v_fma_f16 v18, v14, s8, v33
	;; [unrolled: 1-line block ×5, first 2 shown]
	v_sub_f16_e32 v31, v30, v15
	ds_write_b16 v0, v20
	ds_write_b16 v0, v42 offset:182
	ds_write_b16 v0, v52 offset:364
	;; [unrolled: 1-line block ×13, first 2 shown]
	v_lshl_add_u32 v5, v21, 1, 0
	v_add_f16_e32 v16, v18, v19
	v_add_f16_e32 v29, v14, v11
	v_sub_f16_e32 v37, v13, v24
	v_add_f16_e32 v15, v15, v30
	v_sub_f16_e32 v11, v11, v14
	;; [unrolled: 2-line block ×3, first 2 shown]
	ds_write_b16 v5, v28 offset:2548
	ds_write_b16 v5, v16 offset:2730
	;; [unrolled: 1-line block ×7, first 2 shown]
	v_lshl_add_u32 v31, v9, 1, 0
	v_sub_f16_e32 v33, v25, v17
	v_add_f16_e32 v39, v26, v36
	v_sub_f16_e32 v36, v36, v26
	v_add_f16_e32 v58, v17, v25
	s_waitcnt lgkmcnt(0)
	s_barrier
	ds_read_u16 v12, v0 offset:1456
	ds_read_u16 v17, v0 offset:1638
	ds_read_u16 v10, v0
	ds_read_u16 v11, v0 offset:182
	ds_read_u16 v16, v0 offset:364
	ds_read_u16 v19, v0 offset:546
	ds_read_u16 v15, v0 offset:2730
	ds_read_u16 v18, v0 offset:2912
	ds_read_u16 v20, v0 offset:3094
	ds_read_u16 v25, v31 offset:910
	ds_read_u16 v21, v0 offset:1820
	ds_read_u16 v23, v0 offset:2002
	ds_read_u16 v26, v0 offset:2184
	ds_read_u16 v24, v0 offset:3276
	ds_read_u16 v27, v0 offset:3458
	ds_read_u16 v13, v0 offset:1274
	ds_read_u16 v28, v0 offset:1092
	ds_read_u16 v14, v0 offset:2548
	ds_read_u16 v29, v0 offset:2366
	ds_read_u16 v22, v31 offset:728
	ds_read_u16 v30, v0 offset:3640
	s_waitcnt lgkmcnt(0)
	s_barrier
	ds_write_b16 v0, v50
	ds_write_b16 v0, v46 offset:182
	ds_write_b16 v0, v53 offset:364
	;; [unrolled: 1-line block ×20, first 2 shown]
	s_waitcnt lgkmcnt(0)
	s_barrier
	s_and_saveexec_b64 s[4:5], s[0:1]
	s_cbranch_execz .LBB0_21
; %bb.20:
	v_lshlrev_b32_e32 v32, 1, v9
	v_add_u32_e32 v5, 0x444, v32
	v_mov_b32_e32 v6, 0
	v_lshlrev_b64 v[33:34], 2, v[5:6]
	v_mov_b32_e32 v43, s13
	v_add_co_u32_e32 v33, vcc, s12, v33
	v_addc_co_u32_e32 v34, vcc, v43, v34, vcc
	v_add_u32_e32 v5, 0x38e, v32
	global_load_dwordx2 v[33:34], v[33:34], off offset:2496
	v_lshlrev_b64 v[35:36], 2, v[5:6]
	v_add_u32_e32 v5, 0x2d8, v32
	v_add_co_u32_e32 v35, vcc, s12, v35
	v_addc_co_u32_e32 v36, vcc, v43, v36, vcc
	global_load_dwordx2 v[35:36], v[35:36], off offset:2496
	v_lshlrev_b64 v[37:38], 2, v[5:6]
	ds_read_u16 v44, v31 offset:910
	ds_read_u16 v31, v31 offset:728
	;; [unrolled: 1-line block ×6, first 2 shown]
	v_add_co_u32_e32 v37, vcc, s12, v37
	v_addc_co_u32_e32 v38, vcc, v43, v38, vcc
	global_load_dwordx2 v[37:38], v[37:38], off offset:2496
	v_mul_lo_u32 v39, s3, v3
	v_mul_lo_u32 v40, s2, v4
	v_mad_u64_u32 v[3:4], s[0:1], s2, v3, 0
	v_add_u32_e32 v5, 0x222, v32
	ds_read_u16 v49, v0 offset:2366
	ds_read_u16 v50, v0 offset:2184
	;; [unrolled: 1-line block ×11, first 2 shown]
	v_add3_u32 v4, v4, v40, v39
	v_lshlrev_b64 v[39:40], 2, v[5:6]
	v_lshlrev_b32_e32 v5, 1, v8
	v_lshlrev_b64 v[41:42], 2, v[5:6]
	v_add_co_u32_e32 v39, vcc, s12, v39
	v_addc_co_u32_e32 v40, vcc, v43, v40, vcc
	global_load_dwordx2 v[39:40], v[39:40], off offset:2496
	s_movk_i32 s0, 0x3aee
	s_mov_b32 s1, 0xbaee
	v_add_co_u32_e32 v41, vcc, s12, v41
	v_addc_co_u32_e32 v42, vcc, v43, v42, vcc
	global_load_dwordx2 v[41:42], v[41:42], off offset:2496
	v_lshlrev_b64 v[3:4], 2, v[3:4]
	s_waitcnt vmcnt(4)
	v_lshrrev_b32_e32 v5, 16, v33
	v_lshrrev_b32_e32 v8, 16, v34
	v_mul_f16_e32 v60, v29, v33
	v_mul_f16_e32 v61, v30, v34
	s_waitcnt lgkmcnt(10)
	v_fma_f16 v60, v49, v5, v60
	s_waitcnt lgkmcnt(7)
	v_fma_f16 v61, v52, v8, v61
	v_mul_f16_e32 v5, v29, v5
	v_mul_f16_e32 v8, v30, v8
	v_fma_f16 v5, v49, v33, -v5
	v_fma_f16 v8, v52, v34, -v8
	v_add_f16_e32 v33, v60, v61
	v_add_f16_e32 v34, v28, v60
	v_add_f16_e32 v49, v5, v8
	v_fma_f16 v28, v33, -0.5, v28
	v_sub_f16_e32 v33, v5, v8
	s_waitcnt lgkmcnt(1)
	v_add_f16_e32 v5, v5, v58
	s_waitcnt vmcnt(3)
	v_mul_f16_sdwa v29, v26, v35 dst_sel:DWORD dst_unused:UNUSED_PAD src0_sel:DWORD src1_sel:WORD_1
	v_mul_f16_sdwa v30, v27, v36 dst_sel:DWORD dst_unused:UNUSED_PAD src0_sel:DWORD src1_sel:WORD_1
	v_sub_f16_e32 v62, v60, v61
	v_add_f16_e32 v60, v8, v5
	v_mul_f16_sdwa v8, v50, v35 dst_sel:DWORD dst_unused:UNUSED_PAD src0_sel:DWORD src1_sel:WORD_1
	v_fma_f16 v29, v50, v35, -v29
	v_fma_f16 v30, v53, v36, -v30
	v_fma_f16 v26, v26, v35, v8
	v_mul_f16_sdwa v8, v53, v36 dst_sel:DWORD dst_unused:UNUSED_PAD src0_sel:DWORD src1_sel:WORD_1
	v_add_f16_e32 v52, v29, v30
	v_fma_f16 v27, v27, v36, v8
	v_fma_f16 v5, v52, -0.5, v44
	v_sub_f16_e32 v8, v26, v27
	v_fma_f16 v35, v8, s1, v5
	v_fma_f16 v52, v8, s0, v5
	v_lshlrev_b32_e32 v5, 1, v7
	v_lshlrev_b64 v[7:8], 2, v[5:6]
	v_fma_f16 v49, v49, -0.5, v58
	v_fma_f16 v58, v33, s1, v28
	v_fma_f16 v28, v33, s0, v28
	v_add_f16_e32 v33, v26, v27
	v_fma_f16 v33, v33, -0.5, v25
	v_sub_f16_e32 v36, v29, v30
	v_add_co_u32_e32 v7, vcc, s12, v7
	v_add_f16_e32 v5, v25, v26
	v_fma_f16 v50, v36, s0, v33
	v_fma_f16 v36, v36, s1, v33
	v_addc_co_u32_e32 v8, vcc, v43, v8, vcc
	v_add_f16_e32 v25, v5, v27
	s_waitcnt vmcnt(2)
	v_mul_f16_sdwa v5, v23, v37 dst_sel:DWORD dst_unused:UNUSED_PAD src0_sel:DWORD src1_sel:WORD_1
	v_mul_f16_sdwa v33, v51, v37 dst_sel:DWORD dst_unused:UNUSED_PAD src0_sel:DWORD src1_sel:WORD_1
	global_load_dwordx2 v[7:8], v[7:8], off offset:2496
	v_fma_f16 v5, v51, v37, -v5
	v_mul_f16_sdwa v27, v24, v38 dst_sel:DWORD dst_unused:UNUSED_PAD src0_sel:DWORD src1_sel:WORD_1
	v_fma_f16 v37, v23, v37, v33
	v_mul_f16_sdwa v23, v54, v38 dst_sel:DWORD dst_unused:UNUSED_PAD src0_sel:DWORD src1_sel:WORD_1
	v_mov_b32_e32 v33, v6
	v_fma_f16 v27, v54, v38, -v27
	v_fma_f16 v38, v24, v38, v23
	v_lshlrev_b64 v[23:24], 2, v[32:33]
	ds_read_u16 v26, v0 offset:1820
	v_add_co_u32_e32 v23, vcc, s12, v23
	v_addc_co_u32_e32 v24, vcc, v43, v24, vcc
	global_load_dwordx2 v[23:24], v[23:24], off offset:2496
	v_add_f16_e32 v29, v44, v29
	v_add_f16_e32 v29, v29, v30
	;; [unrolled: 1-line block ×3, first 2 shown]
	v_sub_f16_e32 v33, v5, v27
	v_add_f16_e32 v5, v31, v5
	v_add_f16_e32 v32, v37, v38
	v_add_f16_e32 v27, v5, v27
	v_add_f16_e32 v5, v22, v37
	v_fma_f16 v32, v32, -0.5, v22
	v_add_f16_e32 v22, v5, v38
	s_waitcnt vmcnt(3)
	v_mul_f16_sdwa v5, v21, v39 dst_sel:DWORD dst_unused:UNUSED_PAD src0_sel:DWORD src1_sel:WORD_1
	v_sub_f16_e32 v44, v37, v38
	ds_read_u16 v37, v0 offset:364
	s_waitcnt lgkmcnt(1)
	v_fma_f16 v5, v26, v39, -v5
	v_mul_f16_sdwa v26, v26, v39 dst_sel:DWORD dst_unused:UNUSED_PAD src0_sel:DWORD src1_sel:WORD_1
	v_fma_f16 v30, v30, -0.5, v31
	v_mul_f16_sdwa v31, v20, v40 dst_sel:DWORD dst_unused:UNUSED_PAD src0_sel:DWORD src1_sel:WORD_1
	v_fma_f16 v21, v21, v39, v26
	v_mul_f16_sdwa v26, v45, v40 dst_sel:DWORD dst_unused:UNUSED_PAD src0_sel:DWORD src1_sel:WORD_1
	v_fma_f16 v31, v45, v40, -v31
	v_fma_f16 v20, v20, v40, v26
	v_fma_f16 v43, v33, s0, v32
	v_fma_f16 v32, v33, s1, v32
	v_add_f16_e32 v33, v5, v31
	v_add_f16_e32 v39, v21, v20
	v_sub_f16_e32 v40, v5, v31
	v_add_f16_e32 v5, v59, v5
	v_fma_f16 v33, v33, -0.5, v59
	v_sub_f16_e32 v26, v21, v20
	v_fma_f16 v39, v39, -0.5, v19
	v_add_f16_e32 v31, v5, v31
	v_add_f16_e32 v5, v19, v21
	v_fma_f16 v51, v44, s1, v30
	v_fma_f16 v30, v44, s0, v30
	;; [unrolled: 1-line block ×4, first 2 shown]
	v_add_f16_e32 v19, v5, v20
	v_fma_f16 v20, v26, s0, v33
	v_fma_f16 v21, v40, s1, v39
	ds_read_u16 v39, v0 offset:182
	s_waitcnt vmcnt(2)
	v_mul_f16_sdwa v5, v17, v41 dst_sel:DWORD dst_unused:UNUSED_PAD src0_sel:DWORD src1_sel:WORD_1
	v_mul_f16_sdwa v26, v18, v42 dst_sel:DWORD dst_unused:UNUSED_PAD src0_sel:DWORD src1_sel:WORD_1
	;; [unrolled: 1-line block ×3, first 2 shown]
	v_fma_f16 v5, v55, v41, -v5
	v_fma_f16 v26, v46, v42, -v26
	v_fma_f16 v17, v17, v41, v40
	v_mul_f16_sdwa v40, v46, v42 dst_sel:DWORD dst_unused:UNUSED_PAD src0_sel:DWORD src1_sel:WORD_1
	v_add_f16_e32 v33, v5, v26
	v_fma_f16 v18, v18, v42, v40
	v_sub_f16_e32 v45, v5, v26
	s_waitcnt lgkmcnt(1)
	v_add_f16_e32 v5, v37, v5
	v_add_f16_e32 v42, v17, v18
	;; [unrolled: 1-line block ×4, first 2 shown]
	v_fma_f16 v33, v33, -0.5, v37
	v_fma_f16 v42, v42, -0.5, v16
	v_add_f16_e32 v16, v5, v18
	v_sub_f16_e32 v40, v17, v18
	v_fma_f16 v41, v40, s1, v33
	v_fma_f16 v46, v45, s0, v42
	;; [unrolled: 1-line block ×4, first 2 shown]
	ds_read_u16 v0, v0
	v_add_f16_e32 v34, v34, v61
	v_fma_f16 v61, v62, s0, v49
	s_waitcnt vmcnt(1)
	v_mul_f16_sdwa v5, v12, v7 dst_sel:DWORD dst_unused:UNUSED_PAD src0_sel:DWORD src1_sel:WORD_1
	v_mul_f16_sdwa v37, v56, v7 dst_sel:DWORD dst_unused:UNUSED_PAD src0_sel:DWORD src1_sel:WORD_1
	v_fma_f16 v5, v56, v7, -v5
	v_mul_f16_sdwa v17, v15, v8 dst_sel:DWORD dst_unused:UNUSED_PAD src0_sel:DWORD src1_sel:WORD_1
	v_fma_f16 v7, v12, v7, v37
	v_mul_f16_sdwa v12, v47, v8 dst_sel:DWORD dst_unused:UNUSED_PAD src0_sel:DWORD src1_sel:WORD_1
	v_fma_f16 v17, v47, v8, -v17
	v_fma_f16 v8, v15, v8, v12
	v_add_f16_e32 v18, v5, v17
	v_add_f16_e32 v37, v7, v8
	v_sub_f16_e32 v42, v5, v17
	s_waitcnt lgkmcnt(1)
	v_add_f16_e32 v5, v39, v5
	v_fma_f16 v18, v18, -0.5, v39
	v_sub_f16_e32 v12, v7, v8
	v_fma_f16 v37, v37, -0.5, v11
	v_add_f16_e32 v17, v5, v17
	v_add_f16_e32 v5, v11, v7
	v_fma_f16 v15, v12, s1, v18
	v_fma_f16 v45, v42, s0, v37
	v_fma_f16 v12, v12, s0, v18
	v_fma_f16 v18, v42, s1, v37
	v_add_f16_e32 v7, v5, v8
	s_waitcnt vmcnt(0)
	v_mul_f16_sdwa v5, v13, v23 dst_sel:DWORD dst_unused:UNUSED_PAD src0_sel:DWORD src1_sel:WORD_1
	v_mul_f16_sdwa v37, v57, v23 dst_sel:DWORD dst_unused:UNUSED_PAD src0_sel:DWORD src1_sel:WORD_1
	v_fma_f16 v5, v57, v23, -v5
	v_mul_f16_sdwa v8, v14, v24 dst_sel:DWORD dst_unused:UNUSED_PAD src0_sel:DWORD src1_sel:WORD_1
	v_fma_f16 v13, v13, v23, v37
	v_mul_f16_sdwa v23, v48, v24 dst_sel:DWORD dst_unused:UNUSED_PAD src0_sel:DWORD src1_sel:WORD_1
	v_fma_f16 v8, v48, v24, -v8
	v_fma_f16 v14, v14, v24, v23
	v_add_f16_e32 v11, v5, v8
	v_add_f16_e32 v37, v13, v14
	s_waitcnt lgkmcnt(0)
	v_fma_f16 v11, v11, -0.5, v0
	v_sub_f16_e32 v23, v13, v14
	v_fma_f16 v37, v37, -0.5, v10
	v_sub_f16_e32 v39, v5, v8
	v_fma_f16 v24, v23, s1, v11
	v_fma_f16 v42, v39, s0, v37
	;; [unrolled: 1-line block ×3, first 2 shown]
	s_mov_b32 s0, 0x9b876f53
	v_add_f16_e32 v0, v0, v5
	v_mul_hi_u32 v5, v9, s0
	v_add_f16_e32 v8, v0, v8
	v_add_f16_e32 v0, v10, v13
	;; [unrolled: 1-line block ×3, first 2 shown]
	v_sub_u32_e32 v0, v9, v5
	v_lshrrev_b32_e32 v0, 1, v0
	v_add_u32_e32 v0, v0, v5
	v_lshrrev_b32_e32 v0, 9, v0
	v_mul_u32_u24_e32 v0, 0x27d, v0
	v_sub_u32_e32 v5, v9, v0
	v_mov_b32_e32 v0, s11
	v_add_co_u32_e32 v3, vcc, s10, v3
	v_addc_co_u32_e32 v4, vcc, v0, v4, vcc
	v_lshlrev_b64 v[0:1], 2, v[1:2]
	v_fma_f16 v23, v39, s1, v37
	v_add_co_u32_e32 v2, vcc, v3, v0
	v_addc_co_u32_e32 v3, vcc, v4, v1, vcc
	v_lshlrev_b32_e32 v0, 2, v5
	v_add_co_u32_e32 v0, vcc, v2, v0
	v_add_u32_e32 v5, 0x5b, v9
	v_addc_co_u32_e32 v1, vcc, 0, v3, vcc
	v_pack_b32_f16 v4, v10, v8
	v_mul_hi_u32 v8, v5, s0
	v_fma_f16 v49, v62, s1, v49
	global_store_dword v[0:1], v4, off
	v_pack_b32_f16 v4, v23, v11
	s_movk_i32 s1, 0x1000
	global_store_dword v[0:1], v4, off offset:2548
	v_add_co_u32_e32 v0, vcc, s1, v0
	v_pack_b32_f16 v4, v42, v24
	v_addc_co_u32_e32 v1, vcc, 0, v1, vcc
	global_store_dword v[0:1], v4, off offset:1000
	v_sub_u32_e32 v0, v5, v8
	v_lshrrev_b32_e32 v0, 1, v0
	v_add_u32_e32 v0, v0, v8
	v_lshrrev_b32_e32 v0, 9, v0
	v_mul_u32_u24_e32 v1, 0x27d, v0
	v_sub_u32_e32 v1, v5, v1
	s_movk_i32 s1, 0x777
	v_mad_u32_u24 v5, v0, s1, v1
	v_lshlrev_b64 v[0:1], 2, v[5:6]
	v_pack_b32_f16 v4, v7, v17
	v_add_co_u32_e32 v0, vcc, v2, v0
	v_addc_co_u32_e32 v1, vcc, v3, v1, vcc
	global_store_dword v[0:1], v4, off
	v_add_u32_e32 v0, 0x27d, v5
	v_mov_b32_e32 v1, v6
	v_lshlrev_b64 v[0:1], 2, v[0:1]
	v_pack_b32_f16 v4, v18, v12
	v_add_co_u32_e32 v0, vcc, v2, v0
	v_addc_co_u32_e32 v1, vcc, v3, v1, vcc
	global_store_dword v[0:1], v4, off
	v_add_u32_e32 v5, 0x4fa, v5
	v_add_u32_e32 v4, 0xb6, v9
	v_lshlrev_b64 v[0:1], 2, v[5:6]
	v_mul_hi_u32 v5, v4, s0
	v_add_co_u32_e32 v0, vcc, v2, v0
	v_addc_co_u32_e32 v1, vcc, v3, v1, vcc
	v_pack_b32_f16 v7, v45, v15
	global_store_dword v[0:1], v7, off
	v_sub_u32_e32 v0, v4, v5
	v_lshrrev_b32_e32 v0, 1, v0
	v_add_u32_e32 v0, v0, v5
	v_lshrrev_b32_e32 v0, 9, v0
	v_mul_u32_u24_e32 v1, 0x27d, v0
	v_sub_u32_e32 v1, v4, v1
	v_mad_u32_u24 v5, v0, s1, v1
	v_lshlrev_b64 v[0:1], 2, v[5:6]
	v_pack_b32_f16 v4, v16, v26
	v_add_co_u32_e32 v0, vcc, v2, v0
	v_addc_co_u32_e32 v1, vcc, v3, v1, vcc
	global_store_dword v[0:1], v4, off
	v_add_u32_e32 v0, 0x27d, v5
	v_mov_b32_e32 v1, v6
	v_lshlrev_b64 v[0:1], 2, v[0:1]
	v_pack_b32_f16 v4, v40, v33
	v_add_co_u32_e32 v0, vcc, v2, v0
	v_addc_co_u32_e32 v1, vcc, v3, v1, vcc
	global_store_dword v[0:1], v4, off
	v_add_u32_e32 v5, 0x4fa, v5
	v_add_u32_e32 v4, 0x111, v9
	v_lshlrev_b64 v[0:1], 2, v[5:6]
	v_mul_hi_u32 v5, v4, s0
	v_add_co_u32_e32 v0, vcc, v2, v0
	v_addc_co_u32_e32 v1, vcc, v3, v1, vcc
	v_pack_b32_f16 v7, v46, v41
	global_store_dword v[0:1], v7, off
	v_sub_u32_e32 v0, v4, v5
	v_lshrrev_b32_e32 v0, 1, v0
	v_add_u32_e32 v0, v0, v5
	v_lshrrev_b32_e32 v0, 9, v0
	v_mul_u32_u24_e32 v1, 0x27d, v0
	v_sub_u32_e32 v1, v4, v1
	;; [unrolled: 27-line block ×5, first 2 shown]
	v_mad_u32_u24 v5, v0, s1, v1
	v_lshlrev_b64 v[0:1], 2, v[5:6]
	v_pack_b32_f16 v4, v34, v60
	v_add_co_u32_e32 v0, vcc, v2, v0
	v_addc_co_u32_e32 v1, vcc, v3, v1, vcc
	global_store_dword v[0:1], v4, off
	v_add_u32_e32 v0, 0x27d, v5
	v_mov_b32_e32 v1, v6
	v_lshlrev_b64 v[0:1], 2, v[0:1]
	v_pack_b32_f16 v4, v58, v61
	v_add_co_u32_e32 v0, vcc, v2, v0
	v_addc_co_u32_e32 v1, vcc, v3, v1, vcc
	v_add_u32_e32 v5, 0x4fa, v5
	global_store_dword v[0:1], v4, off
	v_lshlrev_b64 v[0:1], 2, v[5:6]
	v_add_co_u32_e32 v0, vcc, v2, v0
	v_addc_co_u32_e32 v1, vcc, v3, v1, vcc
	v_pack_b32_f16 v2, v28, v49
	global_store_dword v[0:1], v2, off
.LBB0_21:
	s_endpgm
	.section	.rodata,"a",@progbits
	.p2align	6, 0x0
	.amdhsa_kernel fft_rtc_back_len1911_factors_13_7_7_3_wgs_91_tpt_91_halfLds_half_op_CI_CI_unitstride_sbrr_dirReg
		.amdhsa_group_segment_fixed_size 0
		.amdhsa_private_segment_fixed_size 0
		.amdhsa_kernarg_size 104
		.amdhsa_user_sgpr_count 6
		.amdhsa_user_sgpr_private_segment_buffer 1
		.amdhsa_user_sgpr_dispatch_ptr 0
		.amdhsa_user_sgpr_queue_ptr 0
		.amdhsa_user_sgpr_kernarg_segment_ptr 1
		.amdhsa_user_sgpr_dispatch_id 0
		.amdhsa_user_sgpr_flat_scratch_init 0
		.amdhsa_user_sgpr_private_segment_size 0
		.amdhsa_uses_dynamic_stack 0
		.amdhsa_system_sgpr_private_segment_wavefront_offset 0
		.amdhsa_system_sgpr_workgroup_id_x 1
		.amdhsa_system_sgpr_workgroup_id_y 0
		.amdhsa_system_sgpr_workgroup_id_z 0
		.amdhsa_system_sgpr_workgroup_info 0
		.amdhsa_system_vgpr_workitem_id 0
		.amdhsa_next_free_vgpr 93
		.amdhsa_next_free_sgpr 47
		.amdhsa_reserve_vcc 1
		.amdhsa_reserve_flat_scratch 0
		.amdhsa_float_round_mode_32 0
		.amdhsa_float_round_mode_16_64 0
		.amdhsa_float_denorm_mode_32 3
		.amdhsa_float_denorm_mode_16_64 3
		.amdhsa_dx10_clamp 1
		.amdhsa_ieee_mode 1
		.amdhsa_fp16_overflow 0
		.amdhsa_exception_fp_ieee_invalid_op 0
		.amdhsa_exception_fp_denorm_src 0
		.amdhsa_exception_fp_ieee_div_zero 0
		.amdhsa_exception_fp_ieee_overflow 0
		.amdhsa_exception_fp_ieee_underflow 0
		.amdhsa_exception_fp_ieee_inexact 0
		.amdhsa_exception_int_div_zero 0
	.end_amdhsa_kernel
	.text
.Lfunc_end0:
	.size	fft_rtc_back_len1911_factors_13_7_7_3_wgs_91_tpt_91_halfLds_half_op_CI_CI_unitstride_sbrr_dirReg, .Lfunc_end0-fft_rtc_back_len1911_factors_13_7_7_3_wgs_91_tpt_91_halfLds_half_op_CI_CI_unitstride_sbrr_dirReg
                                        ; -- End function
	.section	.AMDGPU.csdata,"",@progbits
; Kernel info:
; codeLenInByte = 14268
; NumSgprs: 51
; NumVgprs: 93
; ScratchSize: 0
; MemoryBound: 0
; FloatMode: 240
; IeeeMode: 1
; LDSByteSize: 0 bytes/workgroup (compile time only)
; SGPRBlocks: 6
; VGPRBlocks: 23
; NumSGPRsForWavesPerEU: 51
; NumVGPRsForWavesPerEU: 93
; Occupancy: 2
; WaveLimiterHint : 1
; COMPUTE_PGM_RSRC2:SCRATCH_EN: 0
; COMPUTE_PGM_RSRC2:USER_SGPR: 6
; COMPUTE_PGM_RSRC2:TRAP_HANDLER: 0
; COMPUTE_PGM_RSRC2:TGID_X_EN: 1
; COMPUTE_PGM_RSRC2:TGID_Y_EN: 0
; COMPUTE_PGM_RSRC2:TGID_Z_EN: 0
; COMPUTE_PGM_RSRC2:TIDIG_COMP_CNT: 0
	.type	__hip_cuid_cad087ed3b78956d,@object ; @__hip_cuid_cad087ed3b78956d
	.section	.bss,"aw",@nobits
	.globl	__hip_cuid_cad087ed3b78956d
__hip_cuid_cad087ed3b78956d:
	.byte	0                               ; 0x0
	.size	__hip_cuid_cad087ed3b78956d, 1

	.ident	"AMD clang version 19.0.0git (https://github.com/RadeonOpenCompute/llvm-project roc-6.4.0 25133 c7fe45cf4b819c5991fe208aaa96edf142730f1d)"
	.section	".note.GNU-stack","",@progbits
	.addrsig
	.addrsig_sym __hip_cuid_cad087ed3b78956d
	.amdgpu_metadata
---
amdhsa.kernels:
  - .args:
      - .actual_access:  read_only
        .address_space:  global
        .offset:         0
        .size:           8
        .value_kind:     global_buffer
      - .offset:         8
        .size:           8
        .value_kind:     by_value
      - .actual_access:  read_only
        .address_space:  global
        .offset:         16
        .size:           8
        .value_kind:     global_buffer
      - .actual_access:  read_only
        .address_space:  global
        .offset:         24
        .size:           8
        .value_kind:     global_buffer
      - .actual_access:  read_only
        .address_space:  global
        .offset:         32
        .size:           8
        .value_kind:     global_buffer
      - .offset:         40
        .size:           8
        .value_kind:     by_value
      - .actual_access:  read_only
        .address_space:  global
        .offset:         48
        .size:           8
        .value_kind:     global_buffer
      - .actual_access:  read_only
        .address_space:  global
        .offset:         56
        .size:           8
        .value_kind:     global_buffer
      - .offset:         64
        .size:           4
        .value_kind:     by_value
      - .actual_access:  read_only
        .address_space:  global
        .offset:         72
        .size:           8
        .value_kind:     global_buffer
      - .actual_access:  read_only
        .address_space:  global
        .offset:         80
        .size:           8
        .value_kind:     global_buffer
      - .actual_access:  read_only
        .address_space:  global
        .offset:         88
        .size:           8
        .value_kind:     global_buffer
      - .actual_access:  write_only
        .address_space:  global
        .offset:         96
        .size:           8
        .value_kind:     global_buffer
    .group_segment_fixed_size: 0
    .kernarg_segment_align: 8
    .kernarg_segment_size: 104
    .language:       OpenCL C
    .language_version:
      - 2
      - 0
    .max_flat_workgroup_size: 91
    .name:           fft_rtc_back_len1911_factors_13_7_7_3_wgs_91_tpt_91_halfLds_half_op_CI_CI_unitstride_sbrr_dirReg
    .private_segment_fixed_size: 0
    .sgpr_count:     51
    .sgpr_spill_count: 0
    .symbol:         fft_rtc_back_len1911_factors_13_7_7_3_wgs_91_tpt_91_halfLds_half_op_CI_CI_unitstride_sbrr_dirReg.kd
    .uniform_work_group_size: 1
    .uses_dynamic_stack: false
    .vgpr_count:     93
    .vgpr_spill_count: 0
    .wavefront_size: 64
amdhsa.target:   amdgcn-amd-amdhsa--gfx906
amdhsa.version:
  - 1
  - 2
...

	.end_amdgpu_metadata
